;; amdgpu-corpus repo=ROCm/rocFFT kind=compiled arch=gfx1201 opt=O3
	.text
	.amdgcn_target "amdgcn-amd-amdhsa--gfx1201"
	.amdhsa_code_object_version 6
	.protected	fft_rtc_back_len1690_factors_13_10_13_wgs_169_tpt_169_dp_ip_CI_unitstride_sbrr_C2R_dirReg ; -- Begin function fft_rtc_back_len1690_factors_13_10_13_wgs_169_tpt_169_dp_ip_CI_unitstride_sbrr_C2R_dirReg
	.globl	fft_rtc_back_len1690_factors_13_10_13_wgs_169_tpt_169_dp_ip_CI_unitstride_sbrr_C2R_dirReg
	.p2align	8
	.type	fft_rtc_back_len1690_factors_13_10_13_wgs_169_tpt_169_dp_ip_CI_unitstride_sbrr_C2R_dirReg,@function
fft_rtc_back_len1690_factors_13_10_13_wgs_169_tpt_169_dp_ip_CI_unitstride_sbrr_C2R_dirReg: ; @fft_rtc_back_len1690_factors_13_10_13_wgs_169_tpt_169_dp_ip_CI_unitstride_sbrr_C2R_dirReg
; %bb.0:
	s_clause 0x2
	s_load_b128 s[4:7], s[0:1], 0x0
	s_load_b64 s[8:9], s[0:1], 0x50
	s_load_b64 s[10:11], s[0:1], 0x18
	v_mul_u32_u24_e32 v1, 0x184, v0
	v_mov_b32_e32 v3, 0
	s_delay_alu instid0(VALU_DEP_2) | instskip(NEXT) | instid1(VALU_DEP_1)
	v_lshrrev_b32_e32 v1, 16, v1
	v_add_nc_u32_e32 v5, ttmp9, v1
	v_mov_b32_e32 v1, 0
	v_mov_b32_e32 v2, 0
	;; [unrolled: 1-line block ×3, first 2 shown]
	s_wait_kmcnt 0x0
	v_cmp_lt_u64_e64 s2, s[6:7], 2
	s_delay_alu instid0(VALU_DEP_1)
	s_and_b32 vcc_lo, exec_lo, s2
	s_cbranch_vccnz .LBB0_8
; %bb.1:
	s_load_b64 s[2:3], s[0:1], 0x10
	v_mov_b32_e32 v1, 0
	v_mov_b32_e32 v2, 0
	s_add_nc_u64 s[12:13], s[10:11], 8
	s_mov_b64 s[14:15], 1
	s_wait_kmcnt 0x0
	s_add_nc_u64 s[16:17], s[2:3], 8
	s_mov_b32 s3, 0
.LBB0_2:                                ; =>This Inner Loop Header: Depth=1
	s_load_b64 s[18:19], s[16:17], 0x0
                                        ; implicit-def: $vgpr7_vgpr8
	s_mov_b32 s2, exec_lo
	s_wait_kmcnt 0x0
	v_or_b32_e32 v4, s19, v6
	s_delay_alu instid0(VALU_DEP_1)
	v_cmpx_ne_u64_e32 0, v[3:4]
	s_wait_alu 0xfffe
	s_xor_b32 s20, exec_lo, s2
	s_cbranch_execz .LBB0_4
; %bb.3:                                ;   in Loop: Header=BB0_2 Depth=1
	s_cvt_f32_u32 s2, s18
	s_cvt_f32_u32 s21, s19
	s_sub_nc_u64 s[24:25], 0, s[18:19]
	s_wait_alu 0xfffe
	s_delay_alu instid0(SALU_CYCLE_1) | instskip(SKIP_1) | instid1(SALU_CYCLE_2)
	s_fmamk_f32 s2, s21, 0x4f800000, s2
	s_wait_alu 0xfffe
	v_s_rcp_f32 s2, s2
	s_delay_alu instid0(TRANS32_DEP_1) | instskip(SKIP_1) | instid1(SALU_CYCLE_2)
	s_mul_f32 s2, s2, 0x5f7ffffc
	s_wait_alu 0xfffe
	s_mul_f32 s21, s2, 0x2f800000
	s_wait_alu 0xfffe
	s_delay_alu instid0(SALU_CYCLE_2) | instskip(SKIP_1) | instid1(SALU_CYCLE_2)
	s_trunc_f32 s21, s21
	s_wait_alu 0xfffe
	s_fmamk_f32 s2, s21, 0xcf800000, s2
	s_cvt_u32_f32 s23, s21
	s_wait_alu 0xfffe
	s_delay_alu instid0(SALU_CYCLE_1) | instskip(SKIP_1) | instid1(SALU_CYCLE_2)
	s_cvt_u32_f32 s22, s2
	s_wait_alu 0xfffe
	s_mul_u64 s[26:27], s[24:25], s[22:23]
	s_wait_alu 0xfffe
	s_mul_hi_u32 s29, s22, s27
	s_mul_i32 s28, s22, s27
	s_mul_hi_u32 s2, s22, s26
	s_mul_i32 s30, s23, s26
	s_wait_alu 0xfffe
	s_add_nc_u64 s[28:29], s[2:3], s[28:29]
	s_mul_hi_u32 s21, s23, s26
	s_mul_hi_u32 s31, s23, s27
	s_add_co_u32 s2, s28, s30
	s_wait_alu 0xfffe
	s_add_co_ci_u32 s2, s29, s21
	s_mul_i32 s26, s23, s27
	s_add_co_ci_u32 s27, s31, 0
	s_wait_alu 0xfffe
	s_add_nc_u64 s[26:27], s[2:3], s[26:27]
	s_wait_alu 0xfffe
	v_add_co_u32 v4, s2, s22, s26
	s_delay_alu instid0(VALU_DEP_1) | instskip(SKIP_1) | instid1(VALU_DEP_1)
	s_cmp_lg_u32 s2, 0
	s_add_co_ci_u32 s23, s23, s27
	v_readfirstlane_b32 s22, v4
	s_wait_alu 0xfffe
	s_delay_alu instid0(VALU_DEP_1)
	s_mul_u64 s[24:25], s[24:25], s[22:23]
	s_wait_alu 0xfffe
	s_mul_hi_u32 s27, s22, s25
	s_mul_i32 s26, s22, s25
	s_mul_hi_u32 s2, s22, s24
	s_mul_i32 s28, s23, s24
	s_wait_alu 0xfffe
	s_add_nc_u64 s[26:27], s[2:3], s[26:27]
	s_mul_hi_u32 s21, s23, s24
	s_mul_hi_u32 s22, s23, s25
	s_wait_alu 0xfffe
	s_add_co_u32 s2, s26, s28
	s_add_co_ci_u32 s2, s27, s21
	s_mul_i32 s24, s23, s25
	s_add_co_ci_u32 s25, s22, 0
	s_wait_alu 0xfffe
	s_add_nc_u64 s[24:25], s[2:3], s[24:25]
	s_wait_alu 0xfffe
	v_add_co_u32 v4, s2, v4, s24
	s_delay_alu instid0(VALU_DEP_1) | instskip(SKIP_1) | instid1(VALU_DEP_1)
	s_cmp_lg_u32 s2, 0
	s_add_co_ci_u32 s2, s23, s25
	v_mul_hi_u32 v13, v5, v4
	s_wait_alu 0xfffe
	v_mad_co_u64_u32 v[7:8], null, v5, s2, 0
	v_mad_co_u64_u32 v[9:10], null, v6, v4, 0
	;; [unrolled: 1-line block ×3, first 2 shown]
	s_delay_alu instid0(VALU_DEP_3) | instskip(SKIP_1) | instid1(VALU_DEP_4)
	v_add_co_u32 v4, vcc_lo, v13, v7
	s_wait_alu 0xfffd
	v_add_co_ci_u32_e32 v7, vcc_lo, 0, v8, vcc_lo
	s_delay_alu instid0(VALU_DEP_2) | instskip(SKIP_1) | instid1(VALU_DEP_2)
	v_add_co_u32 v4, vcc_lo, v4, v9
	s_wait_alu 0xfffd
	v_add_co_ci_u32_e32 v4, vcc_lo, v7, v10, vcc_lo
	s_wait_alu 0xfffd
	v_add_co_ci_u32_e32 v7, vcc_lo, 0, v12, vcc_lo
	s_delay_alu instid0(VALU_DEP_2) | instskip(SKIP_1) | instid1(VALU_DEP_2)
	v_add_co_u32 v4, vcc_lo, v4, v11
	s_wait_alu 0xfffd
	v_add_co_ci_u32_e32 v9, vcc_lo, 0, v7, vcc_lo
	s_delay_alu instid0(VALU_DEP_2) | instskip(SKIP_1) | instid1(VALU_DEP_3)
	v_mul_lo_u32 v10, s19, v4
	v_mad_co_u64_u32 v[7:8], null, s18, v4, 0
	v_mul_lo_u32 v11, s18, v9
	s_delay_alu instid0(VALU_DEP_2) | instskip(NEXT) | instid1(VALU_DEP_2)
	v_sub_co_u32 v7, vcc_lo, v5, v7
	v_add3_u32 v8, v8, v11, v10
	s_delay_alu instid0(VALU_DEP_1) | instskip(SKIP_1) | instid1(VALU_DEP_1)
	v_sub_nc_u32_e32 v10, v6, v8
	s_wait_alu 0xfffd
	v_subrev_co_ci_u32_e64 v10, s2, s19, v10, vcc_lo
	v_add_co_u32 v11, s2, v4, 2
	s_wait_alu 0xf1ff
	v_add_co_ci_u32_e64 v12, s2, 0, v9, s2
	v_sub_co_u32 v13, s2, v7, s18
	v_sub_co_ci_u32_e32 v8, vcc_lo, v6, v8, vcc_lo
	s_wait_alu 0xf1ff
	v_subrev_co_ci_u32_e64 v10, s2, 0, v10, s2
	s_delay_alu instid0(VALU_DEP_3) | instskip(NEXT) | instid1(VALU_DEP_3)
	v_cmp_le_u32_e32 vcc_lo, s18, v13
	v_cmp_eq_u32_e64 s2, s19, v8
	s_wait_alu 0xfffd
	v_cndmask_b32_e64 v13, 0, -1, vcc_lo
	v_cmp_le_u32_e32 vcc_lo, s19, v10
	s_wait_alu 0xfffd
	v_cndmask_b32_e64 v14, 0, -1, vcc_lo
	v_cmp_le_u32_e32 vcc_lo, s18, v7
	;; [unrolled: 3-line block ×3, first 2 shown]
	s_wait_alu 0xfffd
	v_cndmask_b32_e64 v15, 0, -1, vcc_lo
	v_cmp_eq_u32_e32 vcc_lo, s19, v10
	s_wait_alu 0xf1ff
	s_delay_alu instid0(VALU_DEP_2)
	v_cndmask_b32_e64 v7, v15, v7, s2
	s_wait_alu 0xfffd
	v_cndmask_b32_e32 v10, v14, v13, vcc_lo
	v_add_co_u32 v13, vcc_lo, v4, 1
	s_wait_alu 0xfffd
	v_add_co_ci_u32_e32 v14, vcc_lo, 0, v9, vcc_lo
	s_delay_alu instid0(VALU_DEP_3) | instskip(SKIP_2) | instid1(VALU_DEP_3)
	v_cmp_ne_u32_e32 vcc_lo, 0, v10
	s_wait_alu 0xfffd
	v_cndmask_b32_e32 v10, v13, v11, vcc_lo
	v_cndmask_b32_e32 v8, v14, v12, vcc_lo
	v_cmp_ne_u32_e32 vcc_lo, 0, v7
	s_wait_alu 0xfffd
	s_delay_alu instid0(VALU_DEP_2)
	v_dual_cndmask_b32 v7, v4, v10 :: v_dual_cndmask_b32 v8, v9, v8
.LBB0_4:                                ;   in Loop: Header=BB0_2 Depth=1
	s_wait_alu 0xfffe
	s_and_not1_saveexec_b32 s2, s20
	s_cbranch_execz .LBB0_6
; %bb.5:                                ;   in Loop: Header=BB0_2 Depth=1
	v_cvt_f32_u32_e32 v4, s18
	s_sub_co_i32 s20, 0, s18
	s_delay_alu instid0(VALU_DEP_1) | instskip(NEXT) | instid1(TRANS32_DEP_1)
	v_rcp_iflag_f32_e32 v4, v4
	v_mul_f32_e32 v4, 0x4f7ffffe, v4
	s_delay_alu instid0(VALU_DEP_1) | instskip(SKIP_1) | instid1(VALU_DEP_1)
	v_cvt_u32_f32_e32 v4, v4
	s_wait_alu 0xfffe
	v_mul_lo_u32 v7, s20, v4
	s_delay_alu instid0(VALU_DEP_1) | instskip(NEXT) | instid1(VALU_DEP_1)
	v_mul_hi_u32 v7, v4, v7
	v_add_nc_u32_e32 v4, v4, v7
	s_delay_alu instid0(VALU_DEP_1) | instskip(NEXT) | instid1(VALU_DEP_1)
	v_mul_hi_u32 v4, v5, v4
	v_mul_lo_u32 v7, v4, s18
	v_add_nc_u32_e32 v8, 1, v4
	s_delay_alu instid0(VALU_DEP_2) | instskip(NEXT) | instid1(VALU_DEP_1)
	v_sub_nc_u32_e32 v7, v5, v7
	v_subrev_nc_u32_e32 v9, s18, v7
	v_cmp_le_u32_e32 vcc_lo, s18, v7
	s_wait_alu 0xfffd
	s_delay_alu instid0(VALU_DEP_2) | instskip(NEXT) | instid1(VALU_DEP_1)
	v_dual_cndmask_b32 v7, v7, v9 :: v_dual_cndmask_b32 v4, v4, v8
	v_cmp_le_u32_e32 vcc_lo, s18, v7
	s_delay_alu instid0(VALU_DEP_2) | instskip(SKIP_1) | instid1(VALU_DEP_1)
	v_add_nc_u32_e32 v8, 1, v4
	s_wait_alu 0xfffd
	v_dual_cndmask_b32 v7, v4, v8 :: v_dual_mov_b32 v8, v3
.LBB0_6:                                ;   in Loop: Header=BB0_2 Depth=1
	s_wait_alu 0xfffe
	s_or_b32 exec_lo, exec_lo, s2
	s_load_b64 s[20:21], s[12:13], 0x0
	s_delay_alu instid0(VALU_DEP_1)
	v_mul_lo_u32 v4, v8, s18
	v_mul_lo_u32 v11, v7, s19
	v_mad_co_u64_u32 v[9:10], null, v7, s18, 0
	s_add_nc_u64 s[14:15], s[14:15], 1
	s_add_nc_u64 s[12:13], s[12:13], 8
	s_wait_alu 0xfffe
	v_cmp_ge_u64_e64 s2, s[14:15], s[6:7]
	s_add_nc_u64 s[16:17], s[16:17], 8
	s_delay_alu instid0(VALU_DEP_2) | instskip(NEXT) | instid1(VALU_DEP_3)
	v_add3_u32 v4, v10, v11, v4
	v_sub_co_u32 v5, vcc_lo, v5, v9
	s_wait_alu 0xfffd
	s_delay_alu instid0(VALU_DEP_2) | instskip(SKIP_3) | instid1(VALU_DEP_2)
	v_sub_co_ci_u32_e32 v4, vcc_lo, v6, v4, vcc_lo
	s_and_b32 vcc_lo, exec_lo, s2
	s_wait_kmcnt 0x0
	v_mul_lo_u32 v6, s21, v5
	v_mul_lo_u32 v4, s20, v4
	v_mad_co_u64_u32 v[1:2], null, s20, v5, v[1:2]
	s_delay_alu instid0(VALU_DEP_1)
	v_add3_u32 v2, v6, v2, v4
	s_wait_alu 0xfffe
	s_cbranch_vccnz .LBB0_9
; %bb.7:                                ;   in Loop: Header=BB0_2 Depth=1
	v_dual_mov_b32 v5, v7 :: v_dual_mov_b32 v6, v8
	s_branch .LBB0_2
.LBB0_8:
	v_dual_mov_b32 v8, v6 :: v_dual_mov_b32 v7, v5
.LBB0_9:
	s_lshl_b64 s[2:3], s[6:7], 3
	v_mul_hi_u32 v5, 0x183c978, v0
	s_wait_alu 0xfffe
	s_add_nc_u64 s[2:3], s[10:11], s[2:3]
	s_load_b64 s[2:3], s[2:3], 0x0
	s_load_b64 s[0:1], s[0:1], 0x20
	s_wait_kmcnt 0x0
	v_mul_lo_u32 v3, s2, v8
	v_mul_lo_u32 v4, s3, v7
	v_mad_co_u64_u32 v[1:2], null, s2, v7, v[1:2]
	v_cmp_gt_u64_e32 vcc_lo, s[0:1], v[7:8]
	s_delay_alu instid0(VALU_DEP_2) | instskip(SKIP_1) | instid1(VALU_DEP_2)
	v_add3_u32 v2, v4, v2, v3
	v_mul_u32_u24_e32 v3, 0xa9, v5
	v_lshlrev_b64_e32 v[66:67], 4, v[1:2]
	s_delay_alu instid0(VALU_DEP_2)
	v_sub_nc_u32_e32 v64, v0, v3
	s_and_saveexec_b32 s1, vcc_lo
	s_cbranch_execz .LBB0_13
; %bb.10:
	v_mov_b32_e32 v65, 0
	s_delay_alu instid0(VALU_DEP_3) | instskip(SKIP_2) | instid1(VALU_DEP_3)
	v_add_co_u32 v0, s0, s8, v66
	s_wait_alu 0xf1ff
	v_add_co_ci_u32_e64 v1, s0, s9, v67, s0
	v_lshlrev_b64_e32 v[2:3], 4, v[64:65]
	v_lshl_add_u32 v42, v64, 4, 0
	s_mov_b32 s2, exec_lo
	s_delay_alu instid0(VALU_DEP_2) | instskip(SKIP_1) | instid1(VALU_DEP_3)
	v_add_co_u32 v38, s0, v0, v2
	s_wait_alu 0xf1ff
	v_add_co_ci_u32_e64 v39, s0, v1, v3, s0
	s_clause 0x9
	global_load_b128 v[2:5], v[38:39], off
	global_load_b128 v[6:9], v[38:39], off offset:2704
	global_load_b128 v[10:13], v[38:39], off offset:5408
	;; [unrolled: 1-line block ×9, first 2 shown]
	s_wait_loadcnt 0x9
	ds_store_b128 v42, v[2:5]
	s_wait_loadcnt 0x8
	ds_store_b128 v42, v[6:9] offset:2704
	s_wait_loadcnt 0x7
	ds_store_b128 v42, v[10:13] offset:5408
	;; [unrolled: 2-line block ×9, first 2 shown]
	v_cmpx_eq_u32_e32 0xa8, v64
	s_cbranch_execz .LBB0_12
; %bb.11:
	global_load_b128 v[0:3], v[0:1], off offset:27040
	v_mov_b32_e32 v64, 0xa8
	s_wait_loadcnt 0x0
	ds_store_b128 v65, v[0:3] offset:27040
.LBB0_12:
	s_wait_alu 0xfffe
	s_or_b32 exec_lo, exec_lo, s2
.LBB0_13:
	s_wait_alu 0xfffe
	s_or_b32 exec_lo, exec_lo, s1
	v_lshlrev_b32_e32 v0, 4, v64
	global_wb scope:SCOPE_SE
	s_wait_dscnt 0x0
	s_barrier_signal -1
	s_barrier_wait -1
	global_inv scope:SCOPE_SE
	v_add_nc_u32_e32 v188, 0, v0
	v_sub_nc_u32_e32 v10, 0, v0
	s_mov_b32 s1, exec_lo
                                        ; implicit-def: $vgpr4_vgpr5
	ds_load_b64 v[6:7], v188
	ds_load_b64 v[8:9], v10 offset:27040
	s_wait_dscnt 0x0
	v_add_f64_e32 v[0:1], v[6:7], v[8:9]
	v_add_f64_e64 v[2:3], v[6:7], -v[8:9]
	v_cmpx_ne_u32_e32 0, v64
	s_wait_alu 0xfffe
	s_xor_b32 s1, exec_lo, s1
	s_cbranch_execz .LBB0_15
; %bb.14:
	v_mov_b32_e32 v65, 0
	v_add_f64_e32 v[13:14], v[6:7], v[8:9]
	v_add_f64_e64 v[15:16], v[6:7], -v[8:9]
	s_delay_alu instid0(VALU_DEP_3) | instskip(NEXT) | instid1(VALU_DEP_1)
	v_lshlrev_b64_e32 v[0:1], 4, v[64:65]
	v_add_co_u32 v0, s0, s4, v0
	s_wait_alu 0xf1ff
	s_delay_alu instid0(VALU_DEP_2)
	v_add_co_ci_u32_e64 v1, s0, s5, v1, s0
	global_load_b128 v[2:5], v[0:1], off offset:26832
	ds_load_b64 v[0:1], v10 offset:27048
	ds_load_b64 v[11:12], v188 offset:8
	s_wait_dscnt 0x0
	v_add_f64_e32 v[6:7], v[0:1], v[11:12]
	v_add_f64_e64 v[0:1], v[11:12], -v[0:1]
	s_wait_loadcnt 0x0
	v_fma_f64 v[8:9], v[15:16], v[4:5], v[13:14]
	v_fma_f64 v[11:12], -v[15:16], v[4:5], v[13:14]
	s_delay_alu instid0(VALU_DEP_3) | instskip(SKIP_1) | instid1(VALU_DEP_4)
	v_fma_f64 v[13:14], v[6:7], v[4:5], -v[0:1]
	v_fma_f64 v[4:5], v[6:7], v[4:5], v[0:1]
	v_fma_f64 v[0:1], -v[6:7], v[2:3], v[8:9]
	s_delay_alu instid0(VALU_DEP_4) | instskip(NEXT) | instid1(VALU_DEP_4)
	v_fma_f64 v[6:7], v[6:7], v[2:3], v[11:12]
	v_fma_f64 v[8:9], v[15:16], v[2:3], v[13:14]
	s_delay_alu instid0(VALU_DEP_4)
	v_fma_f64 v[2:3], v[15:16], v[2:3], v[4:5]
	v_dual_mov_b32 v4, v64 :: v_dual_mov_b32 v5, v65
	ds_store_b128 v10, v[6:9] offset:27040
.LBB0_15:
	s_wait_alu 0xfffe
	s_and_not1_saveexec_b32 s0, s1
	s_cbranch_execz .LBB0_17
; %bb.16:
	v_mov_b32_e32 v8, 0
	ds_load_b128 v[4:7], v8 offset:13520
	s_wait_dscnt 0x0
	v_add_f64_e32 v[11:12], v[4:5], v[4:5]
	v_mul_f64_e32 v[13:14], -2.0, v[6:7]
	v_mov_b32_e32 v4, 0
	v_mov_b32_e32 v5, 0
	ds_store_b128 v8, v[11:14] offset:13520
.LBB0_17:
	s_wait_alu 0xfffe
	s_or_b32 exec_lo, exec_lo, s0
	v_lshlrev_b64_e32 v[4:5], 4, v[4:5]
	s_add_nc_u64 s[0:1], s[4:5], 0x68d0
	s_mov_b32 s28, 0x4267c47c
	s_mov_b32 s10, 0xe00740e9
	;; [unrolled: 1-line block ×4, first 2 shown]
	s_wait_alu 0xfffe
	v_add_co_u32 v23, s0, s0, v4
	s_wait_alu 0xf1ff
	v_add_co_ci_u32_e64 v24, s0, s1, v5, s0
	s_mov_b32 s18, 0x66966769
	s_mov_b32 s6, 0xebaa3ed8
	;; [unrolled: 1-line block ×3, first 2 shown]
	s_clause 0x1
	global_load_b128 v[4:7], v[23:24], off offset:2704
	global_load_b128 v[11:14], v[23:24], off offset:5408
	ds_store_b128 v188, v[0:3]
	ds_load_b128 v[0:3], v188 offset:2704
	ds_load_b128 v[15:18], v10 offset:24336
	global_load_b128 v[19:22], v[23:24], off offset:8112
	s_mov_b32 s11, 0x3fec55a7
	s_mov_b32 s13, 0xbfea55e2
	;; [unrolled: 1-line block ×14, first 2 shown]
	s_wait_alu 0xfffe
	s_mov_b32 s38, s20
	s_mov_b32 s24, 0xd0032e0c
	;; [unrolled: 1-line block ×4, first 2 shown]
	s_wait_dscnt 0x0
	v_add_f64_e32 v[8:9], v[0:1], v[15:16]
	v_add_f64_e32 v[25:26], v[17:18], v[2:3]
	v_add_f64_e64 v[15:16], v[0:1], -v[15:16]
	v_add_f64_e64 v[0:1], v[2:3], -v[17:18]
	s_mov_b32 s37, 0x3fe5384d
	s_mov_b32 s27, 0x3fddbe06
	;; [unrolled: 1-line block ×7, first 2 shown]
	v_cmp_gt_u32_e64 s0, 0x82, v64
	s_wait_loadcnt 0x2
	s_delay_alu instid0(VALU_DEP_3) | instskip(NEXT) | instid1(VALU_DEP_3)
	v_fma_f64 v[2:3], v[15:16], v[6:7], v[8:9]
	v_fma_f64 v[17:18], v[25:26], v[6:7], v[0:1]
	v_fma_f64 v[8:9], -v[15:16], v[6:7], v[8:9]
	v_fma_f64 v[27:28], v[25:26], v[6:7], -v[0:1]
	s_delay_alu instid0(VALU_DEP_4) | instskip(NEXT) | instid1(VALU_DEP_4)
	v_fma_f64 v[0:1], -v[25:26], v[4:5], v[2:3]
	v_fma_f64 v[2:3], v[15:16], v[4:5], v[17:18]
	s_delay_alu instid0(VALU_DEP_4) | instskip(NEXT) | instid1(VALU_DEP_4)
	v_fma_f64 v[6:7], v[25:26], v[4:5], v[8:9]
	v_fma_f64 v[8:9], v[15:16], v[4:5], v[27:28]
	ds_store_b128 v188, v[0:3] offset:2704
	ds_store_b128 v10, v[6:9] offset:24336
	ds_load_b128 v[0:3], v188 offset:5408
	ds_load_b128 v[4:7], v10 offset:21632
	global_load_b128 v[15:18], v[23:24], off offset:10816
	s_wait_dscnt 0x0
	v_add_f64_e32 v[8:9], v[0:1], v[4:5]
	v_add_f64_e32 v[23:24], v[6:7], v[2:3]
	v_add_f64_e64 v[25:26], v[0:1], -v[4:5]
	v_add_f64_e64 v[0:1], v[2:3], -v[6:7]
	s_wait_loadcnt 0x2
	s_delay_alu instid0(VALU_DEP_2) | instskip(NEXT) | instid1(VALU_DEP_2)
	v_fma_f64 v[2:3], v[25:26], v[13:14], v[8:9]
	v_fma_f64 v[4:5], v[23:24], v[13:14], v[0:1]
	v_fma_f64 v[6:7], -v[25:26], v[13:14], v[8:9]
	v_fma_f64 v[8:9], v[23:24], v[13:14], -v[0:1]
	s_delay_alu instid0(VALU_DEP_4) | instskip(NEXT) | instid1(VALU_DEP_4)
	v_fma_f64 v[0:1], -v[23:24], v[11:12], v[2:3]
	v_fma_f64 v[2:3], v[25:26], v[11:12], v[4:5]
	s_delay_alu instid0(VALU_DEP_4) | instskip(NEXT) | instid1(VALU_DEP_4)
	v_fma_f64 v[4:5], v[23:24], v[11:12], v[6:7]
	v_fma_f64 v[6:7], v[25:26], v[11:12], v[8:9]
	ds_store_b128 v188, v[0:3] offset:5408
	ds_store_b128 v10, v[4:7] offset:21632
	ds_load_b128 v[0:3], v188 offset:8112
	ds_load_b128 v[4:7], v10 offset:18928
	s_wait_dscnt 0x0
	v_add_f64_e32 v[8:9], v[0:1], v[4:5]
	v_add_f64_e32 v[11:12], v[6:7], v[2:3]
	v_add_f64_e64 v[13:14], v[0:1], -v[4:5]
	v_add_f64_e64 v[0:1], v[2:3], -v[6:7]
	s_wait_loadcnt 0x1
	s_delay_alu instid0(VALU_DEP_2) | instskip(NEXT) | instid1(VALU_DEP_2)
	v_fma_f64 v[2:3], v[13:14], v[21:22], v[8:9]
	v_fma_f64 v[4:5], v[11:12], v[21:22], v[0:1]
	v_fma_f64 v[6:7], -v[13:14], v[21:22], v[8:9]
	v_fma_f64 v[8:9], v[11:12], v[21:22], -v[0:1]
	s_delay_alu instid0(VALU_DEP_4) | instskip(NEXT) | instid1(VALU_DEP_4)
	v_fma_f64 v[0:1], -v[11:12], v[19:20], v[2:3]
	v_fma_f64 v[2:3], v[13:14], v[19:20], v[4:5]
	s_delay_alu instid0(VALU_DEP_4) | instskip(NEXT) | instid1(VALU_DEP_4)
	v_fma_f64 v[4:5], v[11:12], v[19:20], v[6:7]
	v_fma_f64 v[6:7], v[13:14], v[19:20], v[8:9]
	ds_store_b128 v188, v[0:3] offset:8112
	ds_store_b128 v10, v[4:7] offset:18928
	ds_load_b128 v[0:3], v188 offset:10816
	ds_load_b128 v[4:7], v10 offset:16224
	s_wait_dscnt 0x0
	v_add_f64_e32 v[8:9], v[0:1], v[4:5]
	v_add_f64_e32 v[11:12], v[6:7], v[2:3]
	v_add_f64_e64 v[13:14], v[0:1], -v[4:5]
	v_add_f64_e64 v[0:1], v[2:3], -v[6:7]
	s_wait_loadcnt 0x0
	s_delay_alu instid0(VALU_DEP_2) | instskip(NEXT) | instid1(VALU_DEP_2)
	v_fma_f64 v[2:3], v[13:14], v[17:18], v[8:9]
	v_fma_f64 v[4:5], v[11:12], v[17:18], v[0:1]
	v_fma_f64 v[6:7], -v[13:14], v[17:18], v[8:9]
	v_fma_f64 v[8:9], v[11:12], v[17:18], -v[0:1]
	s_delay_alu instid0(VALU_DEP_4) | instskip(NEXT) | instid1(VALU_DEP_4)
	v_fma_f64 v[0:1], -v[11:12], v[15:16], v[2:3]
	v_fma_f64 v[2:3], v[13:14], v[15:16], v[4:5]
	s_delay_alu instid0(VALU_DEP_4) | instskip(NEXT) | instid1(VALU_DEP_4)
	v_fma_f64 v[4:5], v[11:12], v[15:16], v[6:7]
	v_fma_f64 v[6:7], v[13:14], v[15:16], v[8:9]
	ds_store_b128 v188, v[0:3] offset:10816
	ds_store_b128 v10, v[4:7] offset:16224
	global_wb scope:SCOPE_SE
	s_wait_dscnt 0x0
	s_barrier_signal -1
	s_barrier_wait -1
	global_inv scope:SCOPE_SE
	global_wb scope:SCOPE_SE
	s_barrier_signal -1
	s_barrier_wait -1
	global_inv scope:SCOPE_SE
	ds_load_b128 v[12:15], v188 offset:24960
	ds_load_b128 v[32:35], v188 offset:2080
	ds_load_b128 v[24:27], v188
	ds_load_b128 v[16:19], v188 offset:22880
	ds_load_b128 v[44:47], v188 offset:4160
	;; [unrolled: 1-line block ×10, first 2 shown]
	global_wb scope:SCOPE_SE
	s_wait_dscnt 0x0
	s_barrier_signal -1
	s_barrier_wait -1
	global_inv scope:SCOPE_SE
	v_add_f64_e64 v[152:153], v[34:35], -v[14:15]
	v_add_f64_e32 v[70:71], v[34:35], v[14:15]
	v_add_f64_e64 v[80:81], v[46:47], -v[18:19]
	v_add_f64_e32 v[68:69], v[46:47], v[18:19]
	v_add_f64_e32 v[76:77], v[32:33], v[12:13]
	v_add_f64_e64 v[170:171], v[32:33], -v[12:13]
	v_add_f64_e64 v[182:183], v[50:51], -v[22:23]
	v_add_f64_e32 v[172:173], v[50:51], v[22:23]
	v_add_f64_e32 v[118:119], v[44:45], v[16:17]
	v_add_f64_e64 v[184:185], v[44:45], -v[16:17]
	v_add_f64_e32 v[136:137], v[48:49], v[20:21]
	v_add_f64_e64 v[186:187], v[48:49], -v[20:21]
	v_add_f64_e64 v[120:121], v[62:63], -v[30:31]
	v_add_f64_e32 v[84:85], v[62:63], v[30:31]
	v_add_f64_e32 v[100:101], v[60:61], v[28:29]
	v_add_f64_e64 v[146:147], v[60:61], -v[28:29]
	v_add_f64_e64 v[140:141], v[58:59], -v[38:39]
	v_add_f64_e32 v[82:83], v[58:59], v[38:39]
	v_add_f64_e64 v[160:161], v[56:57], -v[36:37]
	v_add_f64_e64 v[156:157], v[54:55], -v[42:43]
	v_mul_f64_e32 v[72:73], s[28:29], v[152:153]
	v_mul_f64_e32 v[74:75], s[10:11], v[70:71]
	;; [unrolled: 1-line block ×21, first 2 shown]
	s_wait_alu 0xfffe
	v_mul_f64_e32 v[128:129], s[24:25], v[84:85]
	v_mul_f64_e32 v[130:131], s[26:27], v[120:121]
	v_mul_f64_e32 v[134:135], s[10:11], v[84:85]
	v_mul_f64_e32 v[102:103], s[34:35], v[140:141]
	v_mul_f64_e32 v[106:107], s[24:25], v[82:83]
	v_mul_f64_e32 v[108:109], s[30:31], v[140:141]
	v_mul_f64_e32 v[110:111], s[6:7], v[82:83]
	v_mul_f64_e32 v[114:115], s[12:13], v[140:141]
	v_mul_f64_e32 v[124:125], s[2:3], v[82:83]
	v_fma_f64 v[0:1], v[76:77], s[10:11], -v[72:73]
	v_fma_f64 v[2:3], v[170:171], s[28:29], v[74:75]
	v_fma_f64 v[4:5], v[76:77], s[2:3], -v[164:165]
	v_fma_f64 v[6:7], v[170:171], s[12:13], v[168:169]
	;; [unrolled: 2-line block ×12, first 2 shown]
	v_fma_f64 v[207:208], v[160:161], s[30:31], v[110:111]
	v_fma_f64 v[211:212], v[160:161], s[12:13], v[124:125]
	v_add_f64_e32 v[0:1], v[24:25], v[0:1]
	v_add_f64_e32 v[2:3], v[26:27], v[2:3]
	v_add_f64_e32 v[4:5], v[24:25], v[4:5]
	v_add_f64_e32 v[6:7], v[26:27], v[6:7]
	v_add_f64_e32 v[8:9], v[24:25], v[8:9]
	v_add_f64_e32 v[10:11], v[26:27], v[10:11]
	v_add_f64_e32 v[0:1], v[78:79], v[0:1]
	v_add_f64_e32 v[2:3], v[86:87], v[2:3]
	v_add_f64_e32 v[4:5], v[88:89], v[4:5]
	v_add_f64_e32 v[6:7], v[90:91], v[6:7]
	v_add_f64_e32 v[8:9], v[92:93], v[8:9]
	v_add_f64_e32 v[10:11], v[94:95], v[10:11]
	v_add_f64_e32 v[94:95], v[56:57], v[36:37]
	v_add_f64_e32 v[78:79], v[54:55], v[42:43]
	v_add_f64_e32 v[86:87], v[52:53], v[40:41]
	v_mul_f64_e32 v[88:89], s[22:23], v[156:157]
	v_mul_f64_e32 v[92:93], s[26:27], v[156:157]
	v_add_f64_e32 v[0:1], v[96:97], v[0:1]
	v_add_f64_e32 v[2:3], v[98:99], v[2:3]
	v_add_f64_e32 v[4:5], v[104:105], v[4:5]
	v_add_f64_e32 v[6:7], v[174:175], v[6:7]
	v_add_f64_e32 v[8:9], v[189:190], v[8:9]
	v_add_f64_e32 v[10:11], v[191:192], v[10:11]
	v_add_f64_e64 v[174:175], v[52:53], -v[40:41]
	v_mul_f64_e32 v[90:91], s[16:17], v[78:79]
	v_mul_f64_e32 v[96:97], s[10:11], v[78:79]
	;; [unrolled: 1-line block ×4, first 2 shown]
	v_fma_f64 v[189:190], v[94:95], s[24:25], -v[102:103]
	v_fma_f64 v[191:192], v[160:161], s[34:35], v[106:107]
	v_fma_f64 v[205:206], v[94:95], s[6:7], -v[108:109]
	v_fma_f64 v[209:210], v[94:95], s[2:3], -v[114:115]
	v_add_f64_e32 v[0:1], v[193:194], v[0:1]
	v_add_f64_e32 v[2:3], v[195:196], v[2:3]
	;; [unrolled: 1-line block ×6, first 2 shown]
	v_fma_f64 v[193:194], v[86:87], s[16:17], -v[88:89]
	v_fma_f64 v[195:196], v[174:175], s[22:23], v[90:91]
	v_fma_f64 v[197:198], v[86:87], s[10:11], -v[92:93]
	v_fma_f64 v[199:200], v[174:175], s[26:27], v[96:97]
	;; [unrolled: 2-line block ×3, first 2 shown]
	v_add_f64_e32 v[0:1], v[189:190], v[0:1]
	v_add_f64_e32 v[2:3], v[191:192], v[2:3]
	;; [unrolled: 1-line block ×12, first 2 shown]
	s_and_saveexec_b32 s1, s0
	s_cbranch_execz .LBB0_19
; %bb.18:
	v_add_f64_e32 v[34:35], v[26:27], v[34:35]
	v_add_f64_e32 v[32:33], v[24:25], v[32:33]
	v_mul_f64_e32 v[189:190], s[6:7], v[76:77]
	v_mul_f64_e32 v[191:192], s[28:29], v[170:171]
	;; [unrolled: 1-line block ×25, first 2 shown]
	s_mov_b32 s29, 0x3fea55e2
	s_mov_b32 s28, s12
	v_mul_f64_e32 v[209:210], s[26:27], v[146:147]
	v_mul_f64_e32 v[221:222], s[36:37], v[146:147]
	v_mul_f64_e32 v[227:228], s[24:25], v[100:101]
	v_mul_f64_e32 v[233:234], s[20:21], v[146:147]
	v_mul_f64_e32 v[215:216], s[10:11], v[100:101]
	v_add_f64_e32 v[34:35], v[34:35], v[46:47]
	v_add_f64_e32 v[32:33], v[32:33], v[44:45]
	v_mul_f64_e32 v[44:45], s[22:23], v[170:171]
	v_mul_f64_e32 v[46:47], s[34:35], v[170:171]
	v_add_f64_e32 v[178:179], v[189:190], v[178:179]
	v_add_f64_e32 v[164:165], v[193:194], v[164:165]
	;; [unrolled: 1-line block ×3, first 2 shown]
	v_add_f64_e64 v[74:75], v[74:75], -v[191:192]
	v_fma_f64 v[191:192], v[172:173], s[24:25], v[197:198]
	v_fma_f64 v[193:194], v[172:173], s[24:25], -v[197:198]
	v_fma_f64 v[195:196], v[172:173], s[2:3], v[201:202]
	v_fma_f64 v[197:198], v[172:173], s[2:3], -v[201:202]
	;; [unrolled: 2-line block ×4, first 2 shown]
	v_add_f64_e64 v[154:155], v[154:155], -v[213:214]
	v_add_f64_e64 v[162:163], v[162:163], -v[223:224]
	v_add_f64_e64 v[144:145], v[144:145], -v[225:226]
	v_add_f64_e32 v[142:143], v[231:232], v[142:143]
	v_add_f64_e32 v[148:149], v[219:220], v[148:149]
	v_add_f64_e64 v[132:133], v[132:133], -v[184:185]
	v_add_f64_e64 v[176:177], v[176:177], -v[211:212]
	v_add_f64_e32 v[158:159], v[229:230], v[158:159]
	v_add_f64_e32 v[166:167], v[217:218], v[166:167]
	v_add_f64_e64 v[150:151], v[150:151], -v[186:187]
	v_mul_f64_e32 v[189:190], s[14:15], v[100:101]
	v_add_f64_e32 v[138:139], v[239:240], v[138:139]
	v_mul_f64_e32 v[213:214], s[20:21], v[140:141]
	v_mul_f64_e32 v[229:230], s[30:31], v[160:161]
	;; [unrolled: 1-line block ×10, first 2 shown]
	v_add_f64_e32 v[34:35], v[34:35], v[50:51]
	v_add_f64_e32 v[32:33], v[32:33], v[48:49]
	v_mul_f64_e32 v[48:49], s[20:21], v[170:171]
	v_mul_f64_e32 v[50:51], s[22:23], v[152:153]
	v_fma_f64 v[243:244], v[70:71], s[16:17], v[44:45]
	v_fma_f64 v[44:45], v[70:71], s[16:17], -v[44:45]
	v_fma_f64 v[245:246], v[70:71], s[24:25], v[46:47]
	v_fma_f64 v[46:47], v[70:71], s[24:25], -v[46:47]
	v_add_f64_e32 v[178:179], v[24:25], v[178:179]
	v_add_f64_e32 v[164:165], v[24:25], v[164:165]
	;; [unrolled: 1-line block ×3, first 2 shown]
	v_add_f64_e64 v[110:111], v[110:111], -v[229:230]
	v_add_f64_e32 v[108:109], v[231:232], v[108:109]
	v_add_f64_e32 v[114:115], v[211:212], v[114:115]
	v_add_f64_e64 v[124:125], v[124:125], -v[217:218]
	v_add_f64_e32 v[102:103], v[186:187], v[102:103]
	v_add_f64_e64 v[96:97], v[96:97], -v[239:240]
	v_add_f64_e32 v[88:89], v[184:185], v[88:89]
	v_add_f64_e32 v[34:35], v[34:35], v[62:63]
	;; [unrolled: 1-line block ×3, first 2 shown]
	v_mul_f64_e32 v[60:61], s[18:19], v[170:171]
	v_mul_f64_e32 v[62:63], s[34:35], v[152:153]
	;; [unrolled: 1-line block ×4, first 2 shown]
	v_fma_f64 v[247:248], v[76:77], s[16:17], -v[50:51]
	v_fma_f64 v[50:51], v[76:77], s[16:17], v[50:51]
	v_fma_f64 v[249:250], v[70:71], s[14:15], v[48:49]
	v_fma_f64 v[48:49], v[70:71], s[14:15], -v[48:49]
	v_add_f64_e32 v[44:45], v[26:27], v[44:45]
	v_add_f64_e32 v[245:246], v[26:27], v[245:246]
	;; [unrolled: 1-line block ×8, first 2 shown]
	v_mul_f64_e32 v[56:57], s[30:31], v[80:81]
	v_fma_f64 v[251:252], v[76:77], s[24:25], -v[62:63]
	v_fma_f64 v[62:63], v[76:77], s[24:25], v[62:63]
	v_fma_f64 v[70:71], v[76:77], s[14:15], -v[152:153]
	v_fma_f64 v[76:77], v[76:77], s[14:15], v[152:153]
	v_add_f64_e64 v[60:61], v[180:181], -v[60:61]
	v_add_f64_e64 v[168:169], v[168:169], -v[170:171]
	v_mul_f64_e32 v[58:59], s[36:37], v[80:81]
	v_mul_f64_e32 v[80:81], s[2:3], v[118:119]
	v_add_f64_e32 v[247:248], v[24:25], v[247:248]
	v_add_f64_e32 v[50:51], v[24:25], v[50:51]
	;; [unrolled: 1-line block ×4, first 2 shown]
	v_mul_f64_e32 v[152:153], s[22:23], v[174:175]
	s_mov_b32 s23, 0x3fcea1e5
	v_mul_f64_e32 v[170:171], s[18:19], v[146:147]
	v_add_f64_e32 v[44:45], v[199:200], v[44:45]
	s_wait_alu 0xfffe
	v_mul_f64_e32 v[199:200], s[28:29], v[146:147]
	v_mul_f64_e32 v[146:147], s[22:23], v[146:147]
	;; [unrolled: 1-line block ×3, first 2 shown]
	v_add_f64_e32 v[203:204], v[203:204], v[243:244]
	v_add_f64_e32 v[142:143], v[158:159], v[142:143]
	v_mul_f64_e32 v[140:141], s[22:23], v[140:141]
	v_mul_f64_e32 v[243:244], s[24:25], v[86:87]
	v_add_f64_e32 v[34:35], v[34:35], v[54:55]
	v_add_f64_e32 v[32:33], v[32:33], v[52:53]
	v_fma_f64 v[52:53], v[68:69], s[6:7], v[205:206]
	v_add_f64_e32 v[251:252], v[24:25], v[251:252]
	v_add_f64_e32 v[62:63], v[24:25], v[62:63]
	;; [unrolled: 1-line block ×7, first 2 shown]
	v_fma_f64 v[72:73], v[118:119], s[10:11], -v[241:242]
	v_fma_f64 v[223:224], v[118:119], s[6:7], -v[56:57]
	v_fma_f64 v[241:242], v[118:119], s[10:11], v[241:242]
	v_fma_f64 v[54:55], v[68:69], s[6:7], -v[205:206]
	v_fma_f64 v[205:206], v[68:69], s[24:25], v[207:208]
	;; [unrolled: 2-line block ×3, first 2 shown]
	v_add_f64_e32 v[26:27], v[26:27], v[74:75]
	v_add_f64_e32 v[80:81], v[80:81], v[116:117]
	v_fma_f64 v[116:117], v[136:137], s[10:11], -v[182:183]
	v_mul_f64_e32 v[74:75], s[20:21], v[160:161]
	v_add_f64_e32 v[44:45], v[193:194], v[44:45]
	v_mul_f64_e32 v[207:208], s[34:35], v[160:161]
	v_mul_f64_e32 v[160:161], s[22:23], v[160:161]
	v_add_f64_e64 v[90:91], v[90:91], -v[152:153]
	v_add_f64_e32 v[98:99], v[243:244], v[98:99]
	v_add_f64_e32 v[34:35], v[34:35], v[42:43]
	v_fma_f64 v[42:43], v[118:119], s[24:25], v[58:59]
	v_fma_f64 v[58:59], v[118:119], s[24:25], -v[58:59]
	v_add_f64_e32 v[32:33], v[32:33], v[40:41]
	v_fma_f64 v[40:41], v[136:137], s[24:25], -v[235:236]
	v_fma_f64 v[118:119], v[136:137], s[2:3], -v[237:238]
	v_add_f64_e32 v[52:53], v[52:53], v[245:246]
	v_mul_f64_e32 v[245:246], s[28:29], v[120:121]
	v_add_f64_e32 v[60:61], v[154:155], v[60:61]
	v_add_f64_e32 v[144:145], v[144:145], v[168:169]
	;; [unrolled: 1-line block ×4, first 2 shown]
	v_fma_f64 v[235:236], v[136:137], s[24:25], v[235:236]
	v_add_f64_e32 v[50:51], v[241:242], v[50:51]
	v_mul_f64_e32 v[120:121], s[22:23], v[120:121]
	v_fma_f64 v[237:238], v[136:137], s[2:3], v[237:238]
	v_fma_f64 v[136:137], v[136:137], s[10:11], v[182:183]
	v_add_f64_e32 v[48:49], v[68:69], v[48:49]
	v_add_f64_e32 v[46:47], v[54:55], v[46:47]
	;; [unrolled: 1-line block ×6, first 2 shown]
	v_add_f64_e64 v[80:81], v[122:123], -v[233:234]
	v_fma_f64 v[122:123], v[84:85], s[6:7], v[170:171]
	v_fma_f64 v[132:133], v[84:85], s[2:3], v[199:200]
	;; [unrolled: 1-line block ×3, first 2 shown]
	v_mul_f64_e32 v[182:183], s[10:11], v[86:87]
	v_mul_f64_e32 v[241:242], s[30:31], v[174:175]
	;; [unrolled: 1-line block ×8, first 2 shown]
	v_fma_f64 v[158:159], v[82:83], s[16:17], v[160:161]
	v_add_f64_e64 v[106:107], v[106:107], -v[207:208]
	v_add_f64_e32 v[34:35], v[34:35], v[38:39]
	v_add_f64_e32 v[42:43], v[42:43], v[76:77]
	;; [unrolled: 1-line block ×4, first 2 shown]
	v_add_f64_e64 v[36:37], v[134:135], -v[209:210]
	v_add_f64_e64 v[70:71], v[128:129], -v[221:222]
	v_add_f64_e32 v[76:77], v[227:228], v[126:127]
	v_fma_f64 v[126:127], v[84:85], s[6:7], -v[170:171]
	v_fma_f64 v[134:135], v[84:85], s[2:3], -v[199:200]
	v_fma_f64 v[84:85], v[84:85], s[16:17], -v[146:147]
	v_fma_f64 v[146:147], v[100:101], s[2:3], -v[245:246]
	v_add_f64_e32 v[40:41], v[40:41], v[72:73]
	v_add_f64_e32 v[72:73], v[118:119], v[223:224]
	v_add_f64_e32 v[60:61], v[176:177], v[60:61]
	v_add_f64_e32 v[118:119], v[162:163], v[144:145]
	v_add_f64_e32 v[38:39], v[215:216], v[130:131]
	v_fma_f64 v[164:165], v[100:101], s[2:3], v[245:246]
	v_fma_f64 v[168:169], v[100:101], s[16:17], -v[120:121]
	v_add_f64_e32 v[50:51], v[235:236], v[50:51]
	v_add_f64_e32 v[52:53], v[195:196], v[52:53]
	;; [unrolled: 1-line block ×3, first 2 shown]
	v_fma_f64 v[128:129], v[100:101], s[6:7], -v[180:181]
	v_fma_f64 v[130:131], v[100:101], s[6:7], v[180:181]
	v_fma_f64 v[100:101], v[100:101], s[16:17], v[120:121]
	v_add_f64_e32 v[120:121], v[191:192], v[203:204]
	v_add_f64_e32 v[48:49], v[172:173], v[48:49]
	;; [unrolled: 1-line block ×7, first 2 shown]
	v_fma_f64 v[138:139], v[94:95], s[10:11], -v[225:226]
	v_fma_f64 v[148:149], v[82:83], s[10:11], -v[219:220]
	v_fma_f64 v[150:151], v[94:95], s[10:11], v[225:226]
	v_fma_f64 v[162:163], v[94:95], s[16:17], -v[140:141]
	v_add_f64_e32 v[92:93], v[182:183], v[92:93]
	v_add_f64_e64 v[104:105], v[104:105], -v[247:248]
	v_add_f64_e32 v[30:31], v[34:35], v[30:31]
	v_add_f64_e32 v[42:43], v[136:137], v[42:43]
	;; [unrolled: 1-line block ×4, first 2 shown]
	v_fma_f64 v[32:33], v[82:83], s[14:15], v[74:75]
	v_fma_f64 v[34:35], v[94:95], s[14:15], -v[213:214]
	v_fma_f64 v[74:75], v[82:83], s[14:15], -v[74:75]
	v_fma_f64 v[116:117], v[94:95], s[14:15], v[213:214]
	v_add_f64_e32 v[44:45], v[134:135], v[44:45]
	v_fma_f64 v[136:137], v[82:83], s[10:11], v[219:220]
	v_fma_f64 v[82:83], v[82:83], s[16:17], -v[160:161]
	v_add_f64_e32 v[40:41], v[146:147], v[40:41]
	v_fma_f64 v[94:95], v[94:95], s[16:17], v[140:141]
	v_add_f64_e32 v[36:37], v[36:37], v[60:61]
	v_add_f64_e32 v[60:61], v[70:71], v[118:119]
	v_add_f64_e32 v[70:71], v[76:77], v[142:143]
	v_fma_f64 v[76:77], v[78:79], s[6:7], -v[241:242]
	v_add_f64_e32 v[72:73], v[168:169], v[72:73]
	v_add_f64_e32 v[50:51], v[164:165], v[50:51]
	;; [unrolled: 1-line block ×4, first 2 shown]
	v_fma_f64 v[118:119], v[86:87], s[2:3], -v[156:157]
	v_add_f64_e32 v[120:121], v[132:133], v[120:121]
	v_add_f64_e32 v[48:49], v[126:127], v[48:49]
	;; [unrolled: 1-line block ×7, first 2 shown]
	v_fma_f64 v[80:81], v[86:87], s[6:7], v[251:252]
	v_fma_f64 v[84:85], v[78:79], s[14:15], v[54:55]
	v_fma_f64 v[100:101], v[86:87], s[14:15], -v[68:69]
	v_fma_f64 v[54:55], v[78:79], s[14:15], -v[54:55]
	v_fma_f64 v[68:69], v[86:87], s[14:15], v[68:69]
	v_fma_f64 v[112:113], v[78:79], s[2:3], v[174:175]
	v_add_f64_e32 v[22:23], v[30:31], v[22:23]
	v_add_f64_e32 v[42:43], v[130:131], v[42:43]
	;; [unrolled: 1-line block ×4, first 2 shown]
	v_fma_f64 v[28:29], v[78:79], s[6:7], v[241:242]
	v_fma_f64 v[30:31], v[86:87], s[6:7], -v[251:252]
	v_fma_f64 v[78:79], v[78:79], s[2:3], -v[174:175]
	v_fma_f64 v[86:87], v[86:87], s[2:3], v[156:157]
	v_add_f64_e32 v[34:35], v[34:35], v[40:41]
	v_add_f64_e32 v[40:41], v[74:75], v[44:45]
	;; [unrolled: 1-line block ×29, first 2 shown]
	v_mad_u32_u24 v52, 0xc0, v64, v188
	v_add_f64_e32 v[18:19], v[28:29], v[32:33]
	v_add_f64_e32 v[34:35], v[78:79], v[48:49]
	;; [unrolled: 1-line block ×11, first 2 shown]
	ds_store_b128 v52, v[0:3] offset:160
	ds_store_b128 v52, v[4:7] offset:176
	ds_store_b128 v52, v[40:43] offset:32
	ds_store_b128 v52, v[36:39] offset:48
	ds_store_b128 v52, v[32:35] offset:64
	ds_store_b128 v52, v[28:31] offset:80
	ds_store_b128 v52, v[20:23] offset:96
	ds_store_b128 v52, v[16:19] offset:112
	ds_store_b128 v52, v[24:27] offset:128
	ds_store_b128 v52, v[44:47] offset:144
	ds_store_b128 v52, v[12:15]
	ds_store_b128 v52, v[48:51] offset:16
	ds_store_b128 v52, v[8:11] offset:192
.LBB0_19:
	s_wait_alu 0xfffe
	s_or_b32 exec_lo, exec_lo, s1
	v_and_b32_e32 v12, 0xff, v64
	global_wb scope:SCOPE_SE
	s_wait_dscnt 0x0
	s_barrier_signal -1
	s_barrier_wait -1
	global_inv scope:SCOPE_SE
	v_mul_lo_u16 v12, 0x4f, v12
	s_mov_b32 s10, 0x134454ff
	s_mov_b32 s11, 0xbfee6f0e
	;; [unrolled: 1-line block ×3, first 2 shown]
	s_wait_alu 0xfffe
	s_mov_b32 s2, s10
	v_lshrrev_b16 v52, 10, v12
	s_mov_b32 s14, 0x4755a5e
	s_mov_b32 s15, 0xbfe2cf23
	;; [unrolled: 1-line block ×3, first 2 shown]
	s_wait_alu 0xfffe
	s_mov_b32 s6, s14
	v_mul_lo_u16 v12, v52, 13
	s_mov_b32 s12, 0x372fe950
	s_mov_b32 s13, 0x3fd3c6ef
	;; [unrolled: 1-line block ×4, first 2 shown]
	v_sub_nc_u16 v12, v64, v12
	s_mov_b32 s19, 0xbfd3c6ef
	s_mov_b32 s21, 0xbfe9e377
	s_wait_alu 0xfffe
	s_mov_b32 s18, s12
	s_mov_b32 s20, s16
	v_and_b32_e32 v53, 0xff, v12
	v_and_b32_e32 v52, 0xffff, v52
	s_delay_alu instid0(VALU_DEP_2) | instskip(NEXT) | instid1(VALU_DEP_2)
	v_mul_u32_u24_e32 v12, 9, v53
	v_mul_u32_u24_e32 v52, 0x820, v52
	v_lshlrev_b32_e32 v53, 4, v53
	s_delay_alu instid0(VALU_DEP_3)
	v_lshlrev_b32_e32 v44, 4, v12
	s_clause 0x8
	global_load_b128 v[12:15], v44, s[4:5] offset:32
	global_load_b128 v[16:19], v44, s[4:5] offset:64
	;; [unrolled: 1-line block ×4, first 2 shown]
	global_load_b128 v[28:31], v44, s[4:5]
	global_load_b128 v[32:35], v44, s[4:5] offset:16
	global_load_b128 v[36:39], v44, s[4:5] offset:48
	;; [unrolled: 1-line block ×4, first 2 shown]
	ds_load_b128 v[48:51], v188 offset:8112
	ds_load_b128 v[54:57], v188 offset:13520
	;; [unrolled: 1-line block ×6, first 2 shown]
	v_add3_u32 v52, 0, v52, v53
	s_wait_loadcnt_dscnt 0x805
	v_mul_f64_e32 v[62:63], v[48:49], v[14:15]
	s_wait_loadcnt_dscnt 0x704
	v_mul_f64_e32 v[80:81], v[54:55], v[18:19]
	;; [unrolled: 2-line block ×5, first 2 shown]
	v_mul_f64_e32 v[14:15], v[50:51], v[14:15]
	v_mul_f64_e32 v[18:19], v[56:57], v[18:19]
	;; [unrolled: 1-line block ×4, first 2 shown]
	s_wait_loadcnt_dscnt 0x300
	v_mul_f64_e32 v[92:93], v[78:79], v[34:35]
	v_mul_f64_e32 v[34:35], v[76:77], v[34:35]
	v_mul_f64_e32 v[30:31], v[74:75], v[30:31]
	v_fma_f64 v[50:51], v[50:51], v[12:13], -v[62:63]
	v_fma_f64 v[56:57], v[56:57], v[16:17], -v[80:81]
	;; [unrolled: 1-line block ×4, first 2 shown]
	ds_load_b128 v[60:63], v188 offset:10816
	ds_load_b128 v[80:83], v188 offset:16224
	;; [unrolled: 1-line block ×3, first 2 shown]
	v_fma_f64 v[48:49], v[48:49], v[12:13], v[14:15]
	v_fma_f64 v[16:17], v[54:55], v[16:17], v[18:19]
	;; [unrolled: 1-line block ×4, first 2 shown]
	v_fma_f64 v[22:23], v[74:75], v[28:29], -v[88:89]
	v_fma_f64 v[24:25], v[76:77], v[32:33], v[92:93]
	v_fma_f64 v[26:27], v[78:79], v[32:33], -v[34:35]
	v_fma_f64 v[28:29], v[72:73], v[28:29], v[30:31]
	s_wait_loadcnt_dscnt 0x202
	v_mul_f64_e32 v[94:95], v[62:63], v[38:39]
	v_mul_f64_e32 v[38:39], v[60:61], v[38:39]
	s_wait_loadcnt_dscnt 0x101
	v_mul_f64_e32 v[96:97], v[82:83], v[42:43]
	s_wait_loadcnt_dscnt 0x0
	v_mul_f64_e32 v[98:99], v[86:87], v[46:47]
	v_mul_f64_e32 v[42:43], v[80:81], v[42:43]
	;; [unrolled: 1-line block ×3, first 2 shown]
	v_add_f64_e64 v[78:79], v[50:51], -v[56:57]
	v_add_f64_e32 v[12:13], v[56:57], v[90:91]
	v_add_f64_e32 v[14:15], v[50:51], v[70:71]
	v_add_f64_e64 v[76:77], v[50:51], -v[70:71]
	v_add_f64_e64 v[102:103], v[48:49], -v[16:17]
	v_add_f64_e32 v[30:31], v[16:17], v[18:19]
	v_add_f64_e64 v[54:55], v[16:17], -v[18:19]
	v_add_f64_e64 v[104:105], v[20:21], -v[18:19]
	;; [unrolled: 1-line block ×3, first 2 shown]
	v_fma_f64 v[32:33], v[60:61], v[36:37], v[94:95]
	v_fma_f64 v[34:35], v[62:63], v[36:37], -v[38:39]
	v_fma_f64 v[36:37], v[80:81], v[40:41], v[96:97]
	v_fma_f64 v[38:39], v[84:85], v[44:45], v[98:99]
	v_fma_f64 v[40:41], v[82:83], v[40:41], -v[42:43]
	v_fma_f64 v[42:43], v[86:87], v[44:45], -v[46:47]
	v_add_f64_e32 v[44:45], v[48:49], v[20:21]
	v_add_f64_e64 v[46:47], v[48:49], -v[20:21]
	v_add_f64_e64 v[80:81], v[70:71], -v[90:91]
	;; [unrolled: 1-line block ×5, first 2 shown]
	v_fma_f64 v[58:59], v[12:13], -0.5, v[22:23]
	v_fma_f64 v[60:61], v[14:15], -0.5, v[22:23]
	ds_load_b128 v[12:15], v188
	v_add_f64_e32 v[22:23], v[22:23], v[50:51]
	global_wb scope:SCOPE_SE
	s_wait_dscnt 0x0
	v_fma_f64 v[30:31], v[30:31], -0.5, v[28:29]
	s_barrier_signal -1
	s_barrier_wait -1
	global_inv scope:SCOPE_SE
	v_add_f64_e64 v[108:109], v[26:27], -v[34:35]
	v_add_f64_e32 v[62:63], v[32:33], v[36:37]
	v_add_f64_e32 v[68:69], v[24:25], v[38:39]
	;; [unrolled: 1-line block ×4, first 2 shown]
	v_fma_f64 v[44:45], v[44:45], -0.5, v[28:29]
	v_add_f64_e32 v[94:95], v[12:13], v[24:25]
	v_add_f64_e64 v[96:97], v[26:27], -v[42:43]
	v_add_f64_e64 v[98:99], v[34:35], -v[40:41]
	v_add_f64_e32 v[100:101], v[14:15], v[26:27]
	v_add_f64_e32 v[28:29], v[28:29], v[48:49]
	v_add_f64_e64 v[48:49], v[16:17], -v[48:49]
	v_add_f64_e64 v[110:111], v[42:43], -v[40:41]
	;; [unrolled: 1-line block ×4, first 2 shown]
	v_fma_f64 v[88:89], v[46:47], s[2:3], v[58:59]
	v_fma_f64 v[92:93], v[54:55], s[10:11], v[60:61]
	;; [unrolled: 1-line block ×4, first 2 shown]
	v_add_f64_e32 v[22:23], v[22:23], v[56:57]
	v_fma_f64 v[50:51], v[62:63], -0.5, v[12:13]
	v_add_f64_e64 v[62:63], v[24:25], -v[38:39]
	v_fma_f64 v[12:13], v[68:69], -0.5, v[12:13]
	v_add_f64_e64 v[68:69], v[32:33], -v[36:37]
	v_fma_f64 v[72:73], v[72:73], -0.5, v[14:15]
	v_fma_f64 v[14:15], v[74:75], -0.5, v[14:15]
	v_add_f64_e32 v[74:75], v[78:79], v[80:81]
	v_add_f64_e32 v[78:79], v[82:83], v[84:85]
	v_fma_f64 v[80:81], v[76:77], s[10:11], v[30:31]
	v_fma_f64 v[30:31], v[76:77], s[2:3], v[30:31]
	;; [unrolled: 1-line block ×4, first 2 shown]
	v_add_f64_e32 v[34:35], v[100:101], v[34:35]
	v_add_f64_e32 v[16:17], v[28:29], v[16:17]
	;; [unrolled: 1-line block ×4, first 2 shown]
	v_fma_f64 v[84:85], v[54:55], s[6:7], v[88:89]
	v_fma_f64 v[88:89], v[46:47], s[6:7], v[92:93]
	;; [unrolled: 1-line block ×4, first 2 shown]
	v_add_f64_e64 v[58:59], v[24:25], -v[32:33]
	v_add_f64_e64 v[60:61], v[38:39], -v[36:37]
	;; [unrolled: 1-line block ×4, first 2 shown]
	v_add_f64_e32 v[32:33], v[94:95], v[32:33]
	v_add_f64_e32 v[26:27], v[26:27], v[112:113]
	v_fma_f64 v[56:57], v[96:97], s[10:11], v[50:51]
	v_fma_f64 v[50:51], v[96:97], s[2:3], v[50:51]
	;; [unrolled: 1-line block ×12, first 2 shown]
	v_add_f64_e32 v[34:35], v[34:35], v[40:41]
	v_add_f64_e32 v[16:17], v[16:17], v[18:19]
	;; [unrolled: 1-line block ×3, first 2 shown]
	v_fma_f64 v[76:77], v[74:75], s[12:13], v[84:85]
	v_fma_f64 v[84:85], v[78:79], s[12:13], v[88:89]
	v_fma_f64 v[46:47], v[78:79], s[12:13], v[46:47]
	v_fma_f64 v[54:55], v[74:75], s[12:13], v[54:55]
	v_add_f64_e32 v[58:59], v[58:59], v[60:61]
	v_add_f64_e32 v[60:61], v[108:109], v[110:111]
	;; [unrolled: 1-line block ×4, first 2 shown]
	v_fma_f64 v[22:23], v[98:99], s[14:15], v[56:57]
	v_fma_f64 v[36:37], v[98:99], s[6:7], v[50:51]
	;; [unrolled: 1-line block ×12, first 2 shown]
	v_add_f64_e32 v[34:35], v[34:35], v[42:43]
	v_add_f64_e32 v[16:17], v[16:17], v[20:21]
	;; [unrolled: 1-line block ×3, first 2 shown]
	v_mul_f64_e32 v[48:49], s[14:15], v[76:77]
	v_mul_f64_e32 v[72:73], s[10:11], v[84:85]
	;; [unrolled: 1-line block ×6, first 2 shown]
	s_wait_alu 0xfffe
	v_mul_f64_e32 v[46:47], s[18:19], v[46:47]
	v_mul_f64_e32 v[54:55], s[20:21], v[54:55]
	v_add_f64_e32 v[32:33], v[32:33], v[38:39]
	v_fma_f64 v[42:43], v[58:59], s[12:13], v[22:23]
	v_fma_f64 v[58:59], v[58:59], s[12:13], v[36:37]
	;; [unrolled: 1-line block ×8, first 2 shown]
	v_add_f64_e32 v[14:15], v[34:35], v[18:19]
	v_fma_f64 v[48:49], v[62:63], s[16:17], v[48:49]
	v_fma_f64 v[72:73], v[30:31], s[12:13], v[72:73]
	;; [unrolled: 1-line block ×8, first 2 shown]
	v_add_f64_e32 v[12:13], v[32:33], v[16:17]
	v_add_f64_e64 v[28:29], v[32:33], -v[16:17]
	v_add_f64_e64 v[30:31], v[34:35], -v[18:19]
	v_add_f64_e32 v[16:17], v[42:43], v[48:49]
	v_add_f64_e32 v[24:25], v[40:41], v[72:73]
	;; [unrolled: 1-line block ×8, first 2 shown]
	v_add_f64_e64 v[32:33], v[42:43], -v[48:49]
	v_add_f64_e64 v[40:41], v[40:41], -v[72:73]
	;; [unrolled: 1-line block ×8, first 2 shown]
	ds_store_b128 v52, v[12:15]
	ds_store_b128 v52, v[16:19] offset:208
	ds_store_b128 v52, v[24:27] offset:416
	;; [unrolled: 1-line block ×9, first 2 shown]
	global_wb scope:SCOPE_SE
	s_wait_dscnt 0x0
	s_barrier_signal -1
	s_barrier_wait -1
	global_inv scope:SCOPE_SE
	s_and_saveexec_b32 s1, s0
	s_cbranch_execz .LBB0_21
; %bb.20:
	ds_load_b128 v[12:15], v188
	ds_load_b128 v[16:19], v188 offset:2080
	ds_load_b128 v[24:27], v188 offset:4160
	;; [unrolled: 1-line block ×12, first 2 shown]
.LBB0_21:
	s_wait_alu 0xfffe
	s_or_b32 exec_lo, exec_lo, s1
	global_wb scope:SCOPE_SE
	s_wait_dscnt 0x0
	s_barrier_signal -1
	s_barrier_wait -1
	global_inv scope:SCOPE_SE
	s_and_saveexec_b32 s33, s0
	s_cbranch_execz .LBB0_23
; %bb.22:
	v_dual_mov_b32 v53, 0 :: v_dual_add_nc_u32 v52, 0xffffff7e, v64
	s_mov_b32 s23, 0x3fddbe06
	s_mov_b32 s22, 0x4267c47c
	;; [unrolled: 1-line block ×3, first 2 shown]
	s_delay_alu instid0(VALU_DEP_1)
	v_cndmask_b32_e64 v52, v52, v64, s0
	s_mov_b32 s18, 0x2ef20147
	s_mov_b32 s16, 0x42a4c3d2
	;; [unrolled: 1-line block ×4, first 2 shown]
	v_mul_i32_i24_e32 v52, 12, v52
	s_mov_b32 s13, 0x3fefc445
	s_mov_b32 s19, 0xbfedeba7
	;; [unrolled: 1-line block ×4, first 2 shown]
	v_lshlrev_b64_e32 v[52:53], 4, v[52:53]
	s_mov_b32 s21, 0xbfcea1e5
	s_mov_b32 s27, 0xbfea55e2
	;; [unrolled: 1-line block ×3, first 2 shown]
	s_wait_alu 0xfffe
	s_mov_b32 s26, s16
	s_mov_b32 s34, s12
	v_add_co_u32 v52, s0, s4, v52
	s_wait_alu 0xf1ff
	v_add_co_ci_u32_e64 v53, s0, s5, v53, s0
	s_mov_b32 s2, 0xebaa3ed8
	s_mov_b32 s10, 0xb2365da1
	;; [unrolled: 1-line block ×3, first 2 shown]
	s_clause 0xb
	global_load_b128 v[54:57], v[52:53], off offset:1920
	global_load_b128 v[58:61], v[52:53], off offset:2000
	;; [unrolled: 1-line block ×12, first 2 shown]
	s_mov_b32 s0, 0xd0032e0c
	s_mov_b32 s6, 0xe00740e9
	s_mov_b32 s24, 0x93053d00
	s_mov_b32 s3, 0x3fbedb7d
	s_mov_b32 s11, 0xbfd6b1d8
	s_mov_b32 s5, 0x3fe22d96
	s_mov_b32 s1, 0xbfe7f3cc
	s_mov_b32 s7, 0x3fec55a7
	s_mov_b32 s25, 0xbfef11f4
	s_mov_b32 s29, 0x3fcea1e5
	s_mov_b32 s31, 0x3fe5384d
	s_mov_b32 s37, 0x3fedeba7
	s_mov_b32 s28, s20
	s_mov_b32 s30, s14
	s_mov_b32 s36, s18
	s_wait_loadcnt 0xb
	v_mul_f64_e32 v[52:53], v[38:39], v[56:57]
	s_wait_loadcnt 0xa
	v_mul_f64_e32 v[62:63], v[50:51], v[60:61]
	v_mul_f64_e32 v[56:57], v[36:37], v[56:57]
	;; [unrolled: 1-line block ×3, first 2 shown]
	s_wait_loadcnt 0x7
	v_mul_f64_e32 v[112:113], v[26:27], v[78:79]
	s_wait_loadcnt 0x6
	v_mul_f64_e32 v[114:115], v[16:17], v[82:83]
	v_mul_f64_e32 v[82:83], v[18:19], v[82:83]
	s_wait_loadcnt 0x5
	v_mul_f64_e32 v[116:117], v[6:7], v[86:87]
	v_mul_f64_e32 v[78:79], v[24:25], v[78:79]
	;; [unrolled: 1-line block ×5, first 2 shown]
	s_wait_loadcnt 0x4
	v_mul_f64_e32 v[118:119], v[10:11], v[90:91]
	s_wait_loadcnt 0x3
	v_mul_f64_e32 v[120:121], v[30:31], v[94:95]
	v_mul_f64_e32 v[90:91], v[8:9], v[90:91]
	s_wait_loadcnt 0x2
	v_mul_f64_e32 v[122:123], v[46:47], v[98:99]
	v_mul_f64_e32 v[94:95], v[28:29], v[94:95]
	;; [unrolled: 1-line block ×5, first 2 shown]
	s_wait_loadcnt 0x1
	v_mul_f64_e32 v[124:125], v[34:35], v[102:103]
	s_wait_loadcnt 0x0
	v_mul_f64_e32 v[126:127], v[42:43], v[106:107]
	v_mul_f64_e32 v[102:103], v[32:33], v[102:103]
	;; [unrolled: 1-line block ×3, first 2 shown]
	v_fma_f64 v[52:53], v[36:37], v[54:55], v[52:53]
	v_fma_f64 v[36:37], v[48:49], v[58:59], v[62:63]
	v_fma_f64 v[48:49], v[38:39], v[54:55], -v[56:57]
	v_fma_f64 v[38:39], v[50:51], v[58:59], -v[60:61]
	v_fma_f64 v[54:55], v[24:25], v[76:77], v[112:113]
	v_fma_f64 v[60:61], v[18:19], v[80:81], -v[114:115]
	v_fma_f64 v[58:59], v[16:17], v[80:81], v[82:83]
	v_fma_f64 v[18:19], v[4:5], v[84:85], v[116:117]
	v_fma_f64 v[56:57], v[26:27], v[76:77], -v[78:79]
	v_fma_f64 v[6:7], v[6:7], v[84:85], -v[86:87]
	v_fma_f64 v[50:51], v[20:21], v[68:69], v[108:109]
	v_fma_f64 v[20:21], v[0:1], v[72:73], v[110:111]
	;; [unrolled: 1-line block ×4, first 2 shown]
	v_fma_f64 v[4:5], v[10:11], v[88:89], -v[90:91]
	v_fma_f64 v[8:9], v[44:45], v[96:97], v[122:123]
	v_fma_f64 v[30:31], v[30:31], v[92:93], -v[94:95]
	v_fma_f64 v[44:45], v[22:23], v[68:69], -v[70:71]
	;; [unrolled: 1-line block ×4, first 2 shown]
	v_fma_f64 v[24:25], v[32:33], v[100:101], v[124:125]
	v_fma_f64 v[16:17], v[40:41], v[104:105], v[126:127]
	v_fma_f64 v[26:27], v[34:35], v[100:101], -v[102:103]
	v_fma_f64 v[22:23], v[42:43], v[104:105], -v[106:107]
	v_add_f64_e64 v[32:33], v[52:53], -v[36:37]
	v_add_f64_e32 v[90:91], v[52:53], v[36:37]
	v_add_f64_e64 v[74:75], v[48:49], -v[38:39]
	v_add_f64_e32 v[84:85], v[48:49], v[38:39]
	v_add_f64_e32 v[62:63], v[14:15], v[60:61]
	;; [unrolled: 1-line block ×3, first 2 shown]
	v_add_f64_e64 v[70:71], v[54:55], -v[18:19]
	v_add_f64_e32 v[94:95], v[54:55], v[18:19]
	v_add_f64_e64 v[76:77], v[56:57], -v[6:7]
	v_add_f64_e32 v[88:89], v[56:57], v[6:7]
	;; [unrolled: 2-line block ×3, first 2 shown]
	v_add_f64_e64 v[72:73], v[58:59], -v[0:1]
	v_add_f64_e64 v[80:81], v[60:61], -v[4:5]
	;; [unrolled: 1-line block ×3, first 2 shown]
	v_add_f64_e32 v[60:61], v[60:61], v[4:5]
	v_add_f64_e32 v[58:59], v[58:59], v[0:1]
	v_add_f64_e64 v[82:83], v[44:45], -v[2:3]
	v_add_f64_e32 v[86:87], v[44:45], v[2:3]
	v_add_f64_e64 v[40:41], v[30:31], -v[10:11]
	v_add_f64_e64 v[42:43], v[24:25], -v[16:17]
	v_add_f64_e32 v[98:99], v[30:31], v[10:11]
	v_add_f64_e64 v[46:47], v[26:27], -v[22:23]
	v_add_f64_e32 v[102:103], v[28:29], v[8:9]
	v_add_f64_e32 v[96:97], v[26:27], v[22:23]
	;; [unrolled: 1-line block ×3, first 2 shown]
	v_mul_f64_e32 v[144:145], s[22:23], v[32:33]
	v_mul_f64_e32 v[104:105], s[16:17], v[32:33]
	;; [unrolled: 1-line block ×4, first 2 shown]
	v_add_f64_e32 v[56:57], v[62:63], v[56:57]
	v_add_f64_e32 v[54:55], v[78:79], v[54:55]
	v_mul_f64_e32 v[106:107], s[22:23], v[70:71]
	v_mul_f64_e32 v[120:121], s[12:13], v[70:71]
	;; [unrolled: 1-line block ×3, first 2 shown]
	s_wait_alu 0xfffe
	v_mul_f64_e32 v[116:117], s[28:29], v[32:33]
	v_mul_f64_e32 v[132:133], s[22:23], v[68:69]
	;; [unrolled: 1-line block ×14, first 2 shown]
	s_mov_b32 s23, 0xbfddbe06
	v_mul_f64_e32 v[150:151], s[34:35], v[72:73]
	v_mul_f64_e32 v[164:165], s[26:27], v[72:73]
	;; [unrolled: 1-line block ×3, first 2 shown]
	s_wait_alu 0xfffe
	v_mul_f64_e32 v[72:73], s[22:23], v[72:73]
	v_mul_f64_e32 v[154:155], s[34:35], v[80:81]
	;; [unrolled: 1-line block ×15, first 2 shown]
	v_add_f64_e32 v[44:45], v[56:57], v[44:45]
	v_add_f64_e32 v[50:51], v[54:55], v[50:51]
	v_mul_f64_e32 v[56:57], s[34:35], v[68:69]
	v_mul_f64_e32 v[68:69], s[26:27], v[70:71]
	;; [unrolled: 1-line block ×10, first 2 shown]
	v_fma_f64 v[193:194], v[60:61], s[24:25], v[108:109]
	v_fma_f64 v[197:198], v[58:59], s[24:25], -v[78:79]
	v_fma_f64 v[108:109], v[60:61], s[24:25], -v[108:109]
	v_fma_f64 v[78:79], v[58:59], s[24:25], v[78:79]
	v_fma_f64 v[203:204], v[88:89], s[2:3], v[120:121]
	;; [unrolled: 1-line block ×3, first 2 shown]
	v_fma_f64 v[207:208], v[58:59], s[0:1], -v[128:129]
	v_fma_f64 v[209:210], v[58:59], s[10:11], -v[142:143]
	v_mul_f64_e32 v[178:179], s[30:31], v[76:77]
	v_fma_f64 v[213:214], v[60:61], s[4:5], v[164:165]
	v_fma_f64 v[215:216], v[58:59], s[4:5], -v[170:171]
	v_fma_f64 v[164:165], v[60:61], s[4:5], -v[164:165]
	v_fma_f64 v[170:171], v[58:59], s[4:5], v[170:171]
	v_fma_f64 v[247:248], v[60:61], s[6:7], v[72:73]
	v_mul_f64_e32 v[180:181], s[20:21], v[76:77]
	v_fma_f64 v[211:212], v[58:59], s[2:3], -v[154:155]
	v_fma_f64 v[154:155], v[58:59], s[2:3], v[154:155]
	v_fma_f64 v[249:250], v[58:59], s[6:7], -v[80:81]
	v_mul_f64_e32 v[76:77], s[26:27], v[76:77]
	v_fma_f64 v[186:187], v[84:85], s[4:5], v[104:105]
	v_fma_f64 v[189:190], v[86:87], s[0:1], v[62:63]
	;; [unrolled: 1-line block ×3, first 2 shown]
	v_fma_f64 v[195:196], v[90:91], s[4:5], -v[110:111]
	v_fma_f64 v[104:105], v[84:85], s[4:5], -v[104:105]
	;; [unrolled: 1-line block ×4, first 2 shown]
	v_add_f64_e32 v[44:45], v[44:45], v[48:49]
	v_add_f64_e32 v[50:51], v[50:51], v[52:53]
	v_fma_f64 v[48:49], v[88:89], s[2:3], -v[120:121]
	v_fma_f64 v[120:121], v[60:61], s[0:1], -v[122:123]
	v_fma_f64 v[122:123], v[58:59], s[0:1], v[128:129]
	v_fma_f64 v[128:129], v[60:61], s[10:11], v[136:137]
	v_fma_f64 v[52:53], v[60:61], s[10:11], -v[136:137]
	v_fma_f64 v[136:137], v[58:59], s[10:11], v[142:143]
	v_fma_f64 v[142:143], v[60:61], s[2:3], v[150:151]
	v_fma_f64 v[150:151], v[60:61], s[2:3], -v[150:151]
	v_fma_f64 v[60:61], v[60:61], s[6:7], -v[72:73]
	v_fma_f64 v[58:59], v[58:59], s[6:7], v[80:81]
	v_fma_f64 v[110:111], v[90:91], s[4:5], v[110:111]
	;; [unrolled: 1-line block ×4, first 2 shown]
	v_fma_f64 v[116:117], v[84:85], s[24:25], -v[116:117]
	v_fma_f64 v[118:119], v[86:87], s[4:5], -v[118:119]
	v_fma_f64 v[217:218], v[84:85], s[2:3], v[130:131]
	v_fma_f64 v[219:220], v[86:87], s[6:7], v[132:133]
	v_fma_f64 v[221:222], v[88:89], s[0:1], v[134:135]
	v_fma_f64 v[130:131], v[84:85], s[2:3], -v[130:131]
	v_fma_f64 v[132:133], v[86:87], s[6:7], -v[132:133]
	v_fma_f64 v[134:135], v[88:89], s[0:1], -v[134:135]
	v_fma_f64 v[223:224], v[84:85], s[6:7], v[144:145]
	v_fma_f64 v[225:226], v[86:87], s[10:11], v[146:147]
	v_fma_f64 v[227:228], v[88:89], s[24:25], v[148:149]
	v_fma_f64 v[144:145], v[84:85], s[6:7], -v[144:145]
	v_fma_f64 v[146:147], v[86:87], s[10:11], -v[146:147]
	v_fma_f64 v[148:149], v[88:89], s[24:25], -v[148:149]
	v_fma_f64 v[229:230], v[84:85], s[0:1], v[158:159]
	v_fma_f64 v[231:232], v[86:87], s[24:25], v[160:161]
	v_fma_f64 v[233:234], v[88:89], s[10:11], v[162:163]
	v_fma_f64 v[158:159], v[84:85], s[0:1], -v[158:159]
	v_fma_f64 v[160:161], v[86:87], s[24:25], -v[160:161]
	v_fma_f64 v[162:163], v[88:89], s[10:11], -v[162:163]
	v_fma_f64 v[235:236], v[84:85], s[10:11], v[32:33]
	v_fma_f64 v[32:33], v[84:85], s[10:11], -v[32:33]
	v_fma_f64 v[84:85], v[86:87], s[2:3], v[56:57]
	v_add_f64_e32 v[30:31], v[44:45], v[30:31]
	v_add_f64_e32 v[28:29], v[50:51], v[28:29]
	v_fma_f64 v[44:45], v[86:87], s[2:3], -v[56:57]
	v_fma_f64 v[56:57], v[88:89], s[4:5], v[68:69]
	v_fma_f64 v[68:69], v[88:89], s[4:5], -v[68:69]
	v_fma_f64 v[86:87], v[90:91], s[24:25], -v[126:127]
	v_fma_f64 v[88:89], v[90:91], s[24:25], v[126:127]
	v_fma_f64 v[50:51], v[90:91], s[2:3], -v[138:139]
	v_fma_f64 v[126:127], v[90:91], s[2:3], v[138:139]
	;; [unrolled: 2-line block ×11, first 2 shown]
	v_fma_f64 v[92:93], v[94:95], s[6:7], -v[112:113]
	v_add_f64_e32 v[193:194], v[14:15], v[193:194]
	v_fma_f64 v[112:113], v[94:95], s[6:7], v[112:113]
	v_add_f64_e32 v[197:198], v[12:13], v[197:198]
	v_fma_f64 v[251:252], v[94:95], s[2:3], -v[176:177]
	v_fma_f64 v[176:177], v[94:95], s[2:3], v[176:177]
	v_add_f64_e32 v[108:109], v[14:15], v[108:109]
	v_add_f64_e32 v[78:79], v[12:13], v[78:79]
	;; [unrolled: 1-line block ×17, first 2 shown]
	v_fma_f64 v[60:61], v[94:95], s[10:11], v[182:183]
	v_fma_f64 v[30:31], v[94:95], s[0:1], -v[178:179]
	v_fma_f64 v[28:29], v[94:95], s[24:25], -v[180:181]
	v_fma_f64 v[180:181], v[94:95], s[24:25], v[180:181]
	v_add_f64_e32 v[209:210], v[12:13], v[209:210]
	v_add_f64_e32 v[154:155], v[12:13], v[154:155]
	v_fma_f64 v[178:179], v[94:95], s[0:1], v[178:179]
	v_add_f64_e32 v[136:137], v[12:13], v[136:137]
	v_add_f64_e32 v[211:212], v[12:13], v[211:212]
	;; [unrolled: 1-line block ×5, first 2 shown]
	v_fma_f64 v[58:59], v[94:95], s[10:11], -v[182:183]
	v_fma_f64 v[182:183], v[94:95], s[4:5], -v[76:77]
	v_fma_f64 v[76:77], v[94:95], s[4:5], v[76:77]
	v_mul_f64_e32 v[94:95], s[18:19], v[34:35]
	v_add_f64_e32 v[191:192], v[191:192], v[193:194]
	v_mul_f64_e32 v[184:185], s[12:13], v[42:43]
	v_add_f64_e32 v[92:93], v[92:93], v[197:198]
	v_mul_f64_e32 v[197:198], s[18:19], v[40:41]
	v_mul_f64_e32 v[193:194], s[12:13], v[46:47]
	v_add_f64_e32 v[106:107], v[106:107], v[108:109]
	v_add_f64_e32 v[78:79], v[112:113], v[78:79]
	;; [unrolled: 1-line block ×14, first 2 shown]
	v_mul_f64_e32 v[134:135], s[12:13], v[34:35]
	v_add_f64_e32 v[56:57], v[56:57], v[247:248]
	v_add_f64_e32 v[14:15], v[68:69], v[14:15]
	;; [unrolled: 1-line block ×3, first 2 shown]
	v_mul_f64_e32 v[176:177], s[28:29], v[40:41]
	v_mul_f64_e32 v[24:25], s[26:27], v[34:35]
	;; [unrolled: 1-line block ×3, first 2 shown]
	v_add_f64_e32 v[30:31], v[30:31], v[209:210]
	v_add_f64_e32 v[154:155], v[180:181], v[154:155]
	v_mul_f64_e32 v[209:210], s[26:27], v[40:41]
	v_add_f64_e32 v[136:137], v[178:179], v[136:137]
	v_add_f64_e32 v[28:29], v[28:29], v[211:212]
	v_mul_f64_e32 v[178:179], s[12:13], v[40:41]
	v_mul_f64_e32 v[251:252], s[28:29], v[34:35]
	;; [unrolled: 1-line block ×3, first 2 shown]
	v_add_f64_e32 v[58:59], v[58:59], v[215:216]
	v_mul_f64_e32 v[34:35], s[14:15], v[34:35]
	v_add_f64_e32 v[12:13], v[76:77], v[12:13]
	v_fma_f64 v[211:212], v[98:99], s[10:11], v[94:95]
	v_add_f64_e32 v[189:190], v[189:190], v[191:192]
	v_fma_f64 v[94:95], v[98:99], s[10:11], -v[94:95]
	v_add_f64_e32 v[90:91], v[90:91], v[92:93]
	v_fma_f64 v[180:181], v[98:99], s[6:7], v[114:115]
	v_mul_f64_e32 v[120:121], s[16:17], v[46:47]
	v_add_f64_e32 v[62:63], v[62:63], v[106:107]
	v_add_f64_e32 v[74:75], v[74:75], v[78:79]
	;; [unrolled: 1-line block ×14, first 2 shown]
	v_mul_f64_e32 v[26:27], s[14:15], v[42:43]
	v_add_f64_e32 v[56:57], v[84:85], v[56:57]
	v_add_f64_e32 v[14:15], v[44:45], v[14:15]
	;; [unrolled: 1-line block ×3, first 2 shown]
	v_fma_f64 v[84:85], v[98:99], s[2:3], -v[134:135]
	v_mul_f64_e32 v[221:222], s[14:15], v[46:47]
	v_fma_f64 v[164:165], v[102:103], s[10:11], -v[197:198]
	v_add_f64_e32 v[30:31], v[243:244], v[30:31]
	v_add_f64_e32 v[80:81], v[172:173], v[154:155]
	v_fma_f64 v[68:69], v[98:99], s[6:7], -v[114:115]
	v_add_f64_e32 v[128:129], v[140:141], v[136:137]
	v_add_f64_e32 v[28:29], v[245:246], v[28:29]
	;; [unrolled: 1-line block ×3, first 2 shown]
	v_fma_f64 v[182:183], v[102:103], s[24:25], -v[176:177]
	v_fma_f64 v[44:45], v[102:103], s[4:5], v[209:210]
	v_add_f64_e32 v[58:59], v[72:73], v[58:59]
	v_fma_f64 v[72:73], v[98:99], s[2:3], v[134:135]
	v_add_f64_e32 v[12:13], v[82:83], v[12:13]
	v_fma_f64 v[134:135], v[102:103], s[2:3], v[178:179]
	v_mul_f64_e32 v[112:113], s[18:19], v[46:47]
	v_mul_f64_e32 v[205:206], s[16:17], v[42:43]
	v_add_f64_e32 v[90:91], v[195:196], v[90:91]
	v_fma_f64 v[197:198], v[102:103], s[10:11], v[197:198]
	v_fma_f64 v[170:171], v[96:97], s[10:11], v[108:109]
	v_add_f64_e32 v[62:63], v[104:105], v[62:63]
	v_fma_f64 v[215:216], v[102:103], s[6:7], -v[124:125]
	v_add_f64_e32 v[78:79], v[199:200], v[78:79]
	v_add_f64_e32 v[86:87], v[86:87], v[92:93]
	;; [unrolled: 1-line block ×6, first 2 shown]
	v_fma_f64 v[36:37], v[98:99], s[4:5], v[24:25]
	v_fma_f64 v[24:25], v[98:99], s[4:5], -v[24:25]
	v_fma_f64 v[22:23], v[96:97], s[10:11], -v[108:109]
	v_fma_f64 v[108:109], v[102:103], s[6:7], v[124:125]
	v_fma_f64 v[247:248], v[98:99], s[24:25], -v[251:252]
	v_add_f64_e32 v[92:93], v[158:159], v[122:123]
	v_fma_f64 v[176:177], v[102:103], s[24:25], v[176:177]
	v_fma_f64 v[38:39], v[102:103], s[4:5], -v[209:210]
	v_fma_f64 v[82:83], v[102:103], s[2:3], -v[178:179]
	v_add_f64_e32 v[60:61], v[168:169], v[60:61]
	v_fma_f64 v[142:143], v[102:103], s[0:1], -v[40:41]
	v_fma_f64 v[40:41], v[102:103], s[0:1], v[40:41]
	v_add_f64_e32 v[54:55], v[88:89], v[54:55]
	v_add_f64_e32 v[30:31], v[50:51], v[30:31]
	v_add_f64_e32 v[50:51], v[130:131], v[52:53]
	v_add_f64_e32 v[52:53], v[144:145], v[118:119]
	v_add_f64_e32 v[80:81], v[152:153], v[80:81]
	v_add_f64_e32 v[102:103], v[126:127], v[128:129]
	v_mul_f64_e32 v[42:43], s[20:21], v[42:43]
	v_add_f64_e32 v[74:75], v[110:111], v[74:75]
	v_fma_f64 v[114:115], v[98:99], s[24:25], v[251:252]
	v_fma_f64 v[140:141], v[98:99], s[0:1], v[34:35]
	v_fma_f64 v[34:35], v[98:99], s[0:1], -v[34:35]
	v_add_f64_e32 v[98:99], v[186:187], v[189:190]
	v_add_f64_e32 v[88:89], v[217:218], v[106:107]
	;; [unrolled: 1-line block ×6, first 2 shown]
	v_mul_f64_e32 v[46:47], s[20:21], v[46:47]
	v_add_f64_e32 v[14:15], v[32:33], v[14:15]
	v_add_f64_e32 v[12:13], v[70:71], v[12:13]
	;; [unrolled: 1-line block ×3, first 2 shown]
	v_fma_f64 v[126:127], v[96:97], s[6:7], -v[156:157]
	v_fma_f64 v[128:129], v[100:101], s[6:7], v[166:167]
	v_add_f64_e32 v[2:3], v[10:11], v[2:3]
	v_add_f64_e32 v[8:9], v[8:9], v[20:21]
	;; [unrolled: 1-line block ×5, first 2 shown]
	v_fma_f64 v[227:228], v[96:97], s[2:3], v[184:185]
	v_fma_f64 v[150:151], v[100:101], s[2:3], -v[193:194]
	v_fma_f64 v[184:185], v[96:97], s[2:3], -v[184:185]
	v_add_f64_e32 v[78:79], v[84:85], v[92:93]
	v_fma_f64 v[124:125], v[100:101], s[4:5], -v[120:121]
	v_fma_f64 v[70:71], v[96:97], s[0:1], v[26:27]
	v_fma_f64 v[26:27], v[96:97], s[0:1], -v[26:27]
	v_add_f64_e32 v[60:61], v[134:135], v[60:61]
	v_fma_f64 v[116:117], v[100:101], s[0:1], v[221:222]
	v_add_f64_e32 v[20:21], v[164:165], v[90:91]
	v_add_f64_e32 v[48:49], v[68:69], v[48:49]
	;; [unrolled: 1-line block ×3, first 2 shown]
	v_fma_f64 v[233:234], v[100:101], s[10:11], -v[112:113]
	v_add_f64_e32 v[52:53], v[24:25], v[52:53]
	v_add_f64_e32 v[44:45], v[44:45], v[80:81]
	v_fma_f64 v[76:77], v[100:101], s[10:11], v[112:113]
	v_fma_f64 v[112:113], v[96:97], s[4:5], v[205:206]
	v_fma_f64 v[205:206], v[96:97], s[4:5], -v[205:206]
	v_fma_f64 v[120:121], v[100:101], s[4:5], v[120:121]
	v_add_f64_e32 v[50:51], v[247:248], v[50:51]
	v_add_f64_e32 v[80:81], v[176:177], v[102:103]
	;; [unrolled: 1-line block ×3, first 2 shown]
	v_fma_f64 v[193:194], v[100:101], s[2:3], v[193:194]
	v_fma_f64 v[118:119], v[96:97], s[6:7], v[156:157]
	;; [unrolled: 1-line block ×3, first 2 shown]
	v_fma_f64 v[96:97], v[96:97], s[24:25], -v[42:43]
	v_add_f64_e32 v[42:43], v[197:198], v[74:75]
	v_add_f64_e32 v[16:17], v[211:212], v[98:99]
	;; [unrolled: 1-line block ×4, first 2 shown]
	v_fma_f64 v[110:111], v[100:101], s[0:1], -v[221:222]
	v_add_f64_e32 v[84:85], v[36:37], v[104:105]
	v_add_f64_e32 v[38:39], v[38:39], v[28:29]
	v_fma_f64 v[122:123], v[100:101], s[6:7], -v[166:167]
	v_add_f64_e32 v[72:73], v[72:73], v[106:107]
	v_add_f64_e32 v[58:59], v[82:83], v[58:59]
	v_fma_f64 v[132:133], v[100:101], s[24:25], -v[46:47]
	v_fma_f64 v[46:47], v[100:101], s[24:25], v[46:47]
	v_add_f64_e32 v[82:83], v[34:35], v[14:15]
	v_add_f64_e32 v[86:87], v[40:41], v[12:13]
	;; [unrolled: 1-line block ×32, first 2 shown]
	ds_store_b128 v188, v[34:37] offset:4160
	ds_store_b128 v188, v[30:33] offset:6240
	;; [unrolled: 1-line block ×11, first 2 shown]
	ds_store_b128 v188, v[50:53]
	ds_store_b128 v188, v[0:3] offset:24960
.LBB0_23:
	s_or_b32 exec_lo, exec_lo, s33
	global_wb scope:SCOPE_SE
	s_wait_dscnt 0x0
	s_barrier_signal -1
	s_barrier_wait -1
	global_inv scope:SCOPE_SE
	s_and_saveexec_b32 s0, vcc_lo
	s_cbranch_execz .LBB0_25
; %bb.24:
	v_dual_mov_b32 v65, 0 :: v_dual_add_nc_u32 v8, 0xa9, v64
	v_add_co_u32 v36, vcc_lo, s8, v66
	v_lshl_add_u32 v34, v64, 4, 0
	s_delay_alu instid0(VALU_DEP_3) | instskip(SKIP_4) | instid1(VALU_DEP_4)
	v_lshlrev_b64_e32 v[0:1], 4, v[64:65]
	s_wait_alu 0xfffd
	v_add_co_ci_u32_e32 v37, vcc_lo, s9, v67, vcc_lo
	v_dual_mov_b32 v9, v65 :: v_dual_add_nc_u32 v10, 0x152, v64
	v_dual_mov_b32 v11, v65 :: v_dual_add_nc_u32 v22, 0x1fb, v64
	v_add_co_u32 v16, vcc_lo, v36, v0
	s_wait_alu 0xfffd
	v_add_co_ci_u32_e32 v17, vcc_lo, v37, v1, vcc_lo
	ds_load_b128 v[0:3], v34
	ds_load_b128 v[4:7], v34 offset:2704
	v_lshlrev_b64_e32 v[18:19], 4, v[8:9]
	v_lshlrev_b64_e32 v[20:21], 4, v[10:11]
	ds_load_b128 v[8:11], v34 offset:5408
	ds_load_b128 v[12:15], v34 offset:8112
	v_dual_mov_b32 v23, v65 :: v_dual_add_nc_u32 v24, 0x2a4, v64
	v_mov_b32_e32 v25, v65
	v_add_co_u32 v18, vcc_lo, v36, v18
	s_delay_alu instid0(VALU_DEP_3)
	v_lshlrev_b64_e32 v[22:23], 4, v[22:23]
	s_wait_alu 0xfffd
	v_add_co_ci_u32_e32 v19, vcc_lo, v37, v19, vcc_lo
	v_add_co_u32 v20, vcc_lo, v36, v20
	s_wait_alu 0xfffd
	v_add_co_ci_u32_e32 v21, vcc_lo, v37, v21, vcc_lo
	v_add_co_u32 v22, vcc_lo, v36, v22
	s_wait_dscnt 0x3
	global_store_b128 v[16:17], v[0:3], off
	s_wait_dscnt 0x2
	global_store_b128 v[18:19], v[4:7], off
	v_dual_mov_b32 v3, v65 :: v_dual_add_nc_u32 v2, 0x34d, v64
	s_wait_alu 0xfffd
	v_add_co_ci_u32_e32 v23, vcc_lo, v37, v23, vcc_lo
	v_lshlrev_b64_e32 v[0:1], 4, v[24:25]
	s_wait_dscnt 0x1
	global_store_b128 v[20:21], v[8:11], off
	s_wait_dscnt 0x0
	global_store_b128 v[22:23], v[12:15], off
	v_add_nc_u32_e32 v10, 0x3f6, v64
	v_lshlrev_b64_e32 v[8:9], 4, v[2:3]
	v_dual_mov_b32 v11, v65 :: v_dual_add_nc_u32 v16, 0x49f, v64
	v_add_co_u32 v24, vcc_lo, v36, v0
	s_wait_alu 0xfffd
	v_add_co_ci_u32_e32 v25, vcc_lo, v37, v1, vcc_lo
	s_delay_alu instid0(VALU_DEP_4)
	v_add_co_u32 v26, vcc_lo, v36, v8
	s_wait_alu 0xfffd
	v_add_co_ci_u32_e32 v27, vcc_lo, v37, v9, vcc_lo
	v_lshlrev_b64_e32 v[8:9], 4, v[10:11]
	v_dual_mov_b32 v17, v65 :: v_dual_add_nc_u32 v18, 0x548, v64
	v_dual_mov_b32 v19, v65 :: v_dual_add_nc_u32 v64, 0x5f1, v64
	ds_load_b128 v[0:3], v34 offset:10816
	ds_load_b128 v[4:7], v34 offset:13520
	v_add_co_u32 v28, vcc_lo, v36, v8
	s_wait_alu 0xfffd
	v_add_co_ci_u32_e32 v29, vcc_lo, v37, v9, vcc_lo
	ds_load_b128 v[8:11], v34 offset:16224
	ds_load_b128 v[12:15], v34 offset:18928
	v_lshlrev_b64_e32 v[30:31], 4, v[16:17]
	v_lshlrev_b64_e32 v[32:33], 4, v[18:19]
	ds_load_b128 v[16:19], v34 offset:21632
	ds_load_b128 v[20:23], v34 offset:24336
	v_lshlrev_b64_e32 v[34:35], 4, v[64:65]
	v_add_co_u32 v30, vcc_lo, v36, v30
	s_wait_alu 0xfffd
	v_add_co_ci_u32_e32 v31, vcc_lo, v37, v31, vcc_lo
	v_add_co_u32 v32, vcc_lo, v36, v32
	s_wait_alu 0xfffd
	v_add_co_ci_u32_e32 v33, vcc_lo, v37, v33, vcc_lo
	;; [unrolled: 3-line block ×3, first 2 shown]
	s_wait_dscnt 0x5
	global_store_b128 v[24:25], v[0:3], off
	s_wait_dscnt 0x4
	global_store_b128 v[26:27], v[4:7], off
	s_wait_dscnt 0x3
	global_store_b128 v[28:29], v[8:11], off
	s_wait_dscnt 0x2
	global_store_b128 v[30:31], v[12:15], off
	s_wait_dscnt 0x1
	global_store_b128 v[32:33], v[16:19], off
	s_wait_dscnt 0x0
	global_store_b128 v[34:35], v[20:23], off
.LBB0_25:
	s_nop 0
	s_sendmsg sendmsg(MSG_DEALLOC_VGPRS)
	s_endpgm
	.section	.rodata,"a",@progbits
	.p2align	6, 0x0
	.amdhsa_kernel fft_rtc_back_len1690_factors_13_10_13_wgs_169_tpt_169_dp_ip_CI_unitstride_sbrr_C2R_dirReg
		.amdhsa_group_segment_fixed_size 0
		.amdhsa_private_segment_fixed_size 0
		.amdhsa_kernarg_size 88
		.amdhsa_user_sgpr_count 2
		.amdhsa_user_sgpr_dispatch_ptr 0
		.amdhsa_user_sgpr_queue_ptr 0
		.amdhsa_user_sgpr_kernarg_segment_ptr 1
		.amdhsa_user_sgpr_dispatch_id 0
		.amdhsa_user_sgpr_private_segment_size 0
		.amdhsa_wavefront_size32 1
		.amdhsa_uses_dynamic_stack 0
		.amdhsa_enable_private_segment 0
		.amdhsa_system_sgpr_workgroup_id_x 1
		.amdhsa_system_sgpr_workgroup_id_y 0
		.amdhsa_system_sgpr_workgroup_id_z 0
		.amdhsa_system_sgpr_workgroup_info 0
		.amdhsa_system_vgpr_workitem_id 0
		.amdhsa_next_free_vgpr 253
		.amdhsa_next_free_sgpr 40
		.amdhsa_reserve_vcc 1
		.amdhsa_float_round_mode_32 0
		.amdhsa_float_round_mode_16_64 0
		.amdhsa_float_denorm_mode_32 3
		.amdhsa_float_denorm_mode_16_64 3
		.amdhsa_fp16_overflow 0
		.amdhsa_workgroup_processor_mode 1
		.amdhsa_memory_ordered 1
		.amdhsa_forward_progress 0
		.amdhsa_round_robin_scheduling 0
		.amdhsa_exception_fp_ieee_invalid_op 0
		.amdhsa_exception_fp_denorm_src 0
		.amdhsa_exception_fp_ieee_div_zero 0
		.amdhsa_exception_fp_ieee_overflow 0
		.amdhsa_exception_fp_ieee_underflow 0
		.amdhsa_exception_fp_ieee_inexact 0
		.amdhsa_exception_int_div_zero 0
	.end_amdhsa_kernel
	.text
.Lfunc_end0:
	.size	fft_rtc_back_len1690_factors_13_10_13_wgs_169_tpt_169_dp_ip_CI_unitstride_sbrr_C2R_dirReg, .Lfunc_end0-fft_rtc_back_len1690_factors_13_10_13_wgs_169_tpt_169_dp_ip_CI_unitstride_sbrr_C2R_dirReg
                                        ; -- End function
	.section	.AMDGPU.csdata,"",@progbits
; Kernel info:
; codeLenInByte = 11416
; NumSgprs: 42
; NumVgprs: 253
; ScratchSize: 0
; MemoryBound: 0
; FloatMode: 240
; IeeeMode: 1
; LDSByteSize: 0 bytes/workgroup (compile time only)
; SGPRBlocks: 5
; VGPRBlocks: 31
; NumSGPRsForWavesPerEU: 42
; NumVGPRsForWavesPerEU: 253
; Occupancy: 5
; WaveLimiterHint : 1
; COMPUTE_PGM_RSRC2:SCRATCH_EN: 0
; COMPUTE_PGM_RSRC2:USER_SGPR: 2
; COMPUTE_PGM_RSRC2:TRAP_HANDLER: 0
; COMPUTE_PGM_RSRC2:TGID_X_EN: 1
; COMPUTE_PGM_RSRC2:TGID_Y_EN: 0
; COMPUTE_PGM_RSRC2:TGID_Z_EN: 0
; COMPUTE_PGM_RSRC2:TIDIG_COMP_CNT: 0
	.text
	.p2alignl 7, 3214868480
	.fill 96, 4, 3214868480
	.type	__hip_cuid_3794a65b456b680f,@object ; @__hip_cuid_3794a65b456b680f
	.section	.bss,"aw",@nobits
	.globl	__hip_cuid_3794a65b456b680f
__hip_cuid_3794a65b456b680f:
	.byte	0                               ; 0x0
	.size	__hip_cuid_3794a65b456b680f, 1

	.ident	"AMD clang version 19.0.0git (https://github.com/RadeonOpenCompute/llvm-project roc-6.4.0 25133 c7fe45cf4b819c5991fe208aaa96edf142730f1d)"
	.section	".note.GNU-stack","",@progbits
	.addrsig
	.addrsig_sym __hip_cuid_3794a65b456b680f
	.amdgpu_metadata
---
amdhsa.kernels:
  - .args:
      - .actual_access:  read_only
        .address_space:  global
        .offset:         0
        .size:           8
        .value_kind:     global_buffer
      - .offset:         8
        .size:           8
        .value_kind:     by_value
      - .actual_access:  read_only
        .address_space:  global
        .offset:         16
        .size:           8
        .value_kind:     global_buffer
      - .actual_access:  read_only
        .address_space:  global
        .offset:         24
        .size:           8
        .value_kind:     global_buffer
      - .offset:         32
        .size:           8
        .value_kind:     by_value
      - .actual_access:  read_only
        .address_space:  global
        .offset:         40
        .size:           8
        .value_kind:     global_buffer
      - .actual_access:  read_only
        .address_space:  global
        .offset:         48
        .size:           8
        .value_kind:     global_buffer
      - .offset:         56
        .size:           4
        .value_kind:     by_value
      - .actual_access:  read_only
        .address_space:  global
        .offset:         64
        .size:           8
        .value_kind:     global_buffer
      - .actual_access:  read_only
        .address_space:  global
        .offset:         72
        .size:           8
        .value_kind:     global_buffer
      - .address_space:  global
        .offset:         80
        .size:           8
        .value_kind:     global_buffer
    .group_segment_fixed_size: 0
    .kernarg_segment_align: 8
    .kernarg_segment_size: 88
    .language:       OpenCL C
    .language_version:
      - 2
      - 0
    .max_flat_workgroup_size: 169
    .name:           fft_rtc_back_len1690_factors_13_10_13_wgs_169_tpt_169_dp_ip_CI_unitstride_sbrr_C2R_dirReg
    .private_segment_fixed_size: 0
    .sgpr_count:     42
    .sgpr_spill_count: 0
    .symbol:         fft_rtc_back_len1690_factors_13_10_13_wgs_169_tpt_169_dp_ip_CI_unitstride_sbrr_C2R_dirReg.kd
    .uniform_work_group_size: 1
    .uses_dynamic_stack: false
    .vgpr_count:     253
    .vgpr_spill_count: 0
    .wavefront_size: 32
    .workgroup_processor_mode: 1
amdhsa.target:   amdgcn-amd-amdhsa--gfx1201
amdhsa.version:
  - 1
  - 2
...

	.end_amdgpu_metadata
